;; amdgpu-corpus repo=ROCm/hipCUB kind=compiled arch=gfx90a opt=O3
	.text
	.amdgcn_target "amdgcn-amd-amdhsa--gfx90a"
	.amdhsa_code_object_version 6
	.section	.text._Z18warp_reduce_kernelIfLj1ELj61EENSt9enable_ifIXsr10test_utilsE35device_test_enabled_for_warp_size_vIXT1_EEEvE4typeEPT_S4_,"axG",@progbits,_Z18warp_reduce_kernelIfLj1ELj61EENSt9enable_ifIXsr10test_utilsE35device_test_enabled_for_warp_size_vIXT1_EEEvE4typeEPT_S4_,comdat
	.protected	_Z18warp_reduce_kernelIfLj1ELj61EENSt9enable_ifIXsr10test_utilsE35device_test_enabled_for_warp_size_vIXT1_EEEvE4typeEPT_S4_ ; -- Begin function _Z18warp_reduce_kernelIfLj1ELj61EENSt9enable_ifIXsr10test_utilsE35device_test_enabled_for_warp_size_vIXT1_EEEvE4typeEPT_S4_
	.globl	_Z18warp_reduce_kernelIfLj1ELj61EENSt9enable_ifIXsr10test_utilsE35device_test_enabled_for_warp_size_vIXT1_EEEvE4typeEPT_S4_
	.p2align	8
	.type	_Z18warp_reduce_kernelIfLj1ELj61EENSt9enable_ifIXsr10test_utilsE35device_test_enabled_for_warp_size_vIXT1_EEEvE4typeEPT_S4_,@function
_Z18warp_reduce_kernelIfLj1ELj61EENSt9enable_ifIXsr10test_utilsE35device_test_enabled_for_warp_size_vIXT1_EEEvE4typeEPT_S4_: ; @_Z18warp_reduce_kernelIfLj1ELj61EENSt9enable_ifIXsr10test_utilsE35device_test_enabled_for_warp_size_vIXT1_EEEvE4typeEPT_S4_
; %bb.0:
	s_load_dword s7, s[4:5], 0x1c
	s_load_dwordx4 s[0:3], s[4:5], 0x0
	s_mov_b32 s5, 0
	v_mbcnt_lo_u32_b32 v0, -1, 0
	v_mbcnt_hi_u32_b32 v0, -1, v0
	s_waitcnt lgkmcnt(0)
	s_and_b32 s4, s7, 0xffff
	s_mul_i32 s4, s6, s4
	s_lshl_b64 s[6:7], s[4:5], 2
	s_add_u32 s0, s0, s6
	s_addc_u32 s1, s1, s7
	s_load_dword s0, s[0:1], 0x0
	s_mov_b32 s1, 0x4325c54
	v_mul_hi_u32 v1, v0, s1
	v_mul_u32_u24_e32 v1, 61, v1
	v_sub_u32_e32 v1, v0, v1
	v_cmp_lt_u32_e32 vcc, 28, v1
	v_readfirstlane_b32 s5, v1
	v_lshlrev_b32_e32 v0, 2, v1
	s_waitcnt lgkmcnt(0)
	v_mov_b32_e32 v2, s0
	s_and_b64 s[6:7], vcc, exec
	v_cmp_gt_u32_e32 vcc, 29, v1
	ds_write_b32 v0, v2
	; wave barrier
	s_cbranch_scc1 .LBB0_2
; %bb.1:
	ds_read2_b32 v[2:3], v0 offset1:32
	s_waitcnt lgkmcnt(0)
	v_add_f32_e32 v1, v2, v3
	s_branch .LBB0_3
.LBB0_2:
	v_mov_b32_e32 v1, s0
.LBB0_3:
	s_andn2_b64 vcc, exec, vcc
	; wave barrier
	s_cbranch_vccnz .LBB0_5
; %bb.4:
	ds_write_b32 v0, v1
.LBB0_5:
	s_cmp_lt_u32 s5, 16
	s_cselect_b64 s[0:1], -1, 0
	s_cmp_gt_u32 s5, 15
	; wave barrier
	s_cbranch_scc1 .LBB0_7
; %bb.6:
	ds_read2_b32 v[2:3], v0 offset1:16
	s_waitcnt lgkmcnt(0)
	v_add_f32_e32 v1, v2, v3
.LBB0_7:
	s_andn2_b64 vcc, exec, s[0:1]
	; wave barrier
	s_cbranch_vccnz .LBB0_9
; %bb.8:
	ds_write_b32 v0, v1
.LBB0_9:
	s_cmp_lt_u32 s5, 8
	s_cselect_b64 s[0:1], -1, 0
	s_cmp_gt_u32 s5, 7
	; wave barrier
	s_cbranch_scc1 .LBB0_11
; %bb.10:
	ds_read2_b32 v[2:3], v0 offset1:8
	s_waitcnt lgkmcnt(0)
	v_add_f32_e32 v1, v2, v3
.LBB0_11:
	s_andn2_b64 vcc, exec, s[0:1]
	;; [unrolled: 16-line block ×4, first 2 shown]
	; wave barrier
	s_cbranch_vccnz .LBB0_21
; %bb.20:
	ds_write_b32 v0, v1
.LBB0_21:
	s_cmp_eq_u32 s5, 0
	s_cselect_b64 s[0:1], -1, 0
	s_cmp_lg_u32 s5, 0
	; wave barrier
	s_cbranch_scc1 .LBB0_23
; %bb.22:
	v_mov_b32_e32 v1, 0
	ds_read_b32 v2, v0
	ds_read_b32 v1, v1 offset:4
	s_waitcnt lgkmcnt(0)
	v_add_f32_e32 v1, v2, v1
.LBB0_23:
	s_andn2_b64 vcc, exec, s[0:1]
	; wave barrier
	s_cbranch_vccnz .LBB0_25
; %bb.24:
	ds_write_b32 v0, v1
.LBB0_25:
	; wave barrier
	s_branch .LBB0_27
; %bb.26:
	s_endpgm
.LBB0_27:
	s_mul_hi_u32 s0, s4, 0x4325c53f
	s_lshr_b32 s0, s0, 2
	s_and_b32 s0, s0, 0x1ffffffc
	v_mov_b32_e32 v0, s0
	global_store_dword v0, v1, s[2:3]
	s_endpgm
	.section	.rodata,"a",@progbits
	.p2align	6, 0x0
	.amdhsa_kernel _Z18warp_reduce_kernelIfLj1ELj61EENSt9enable_ifIXsr10test_utilsE35device_test_enabled_for_warp_size_vIXT1_EEEvE4typeEPT_S4_
		.amdhsa_group_segment_fixed_size 244
		.amdhsa_private_segment_fixed_size 0
		.amdhsa_kernarg_size 272
		.amdhsa_user_sgpr_count 6
		.amdhsa_user_sgpr_private_segment_buffer 1
		.amdhsa_user_sgpr_dispatch_ptr 0
		.amdhsa_user_sgpr_queue_ptr 0
		.amdhsa_user_sgpr_kernarg_segment_ptr 1
		.amdhsa_user_sgpr_dispatch_id 0
		.amdhsa_user_sgpr_flat_scratch_init 0
		.amdhsa_user_sgpr_kernarg_preload_length 0
		.amdhsa_user_sgpr_kernarg_preload_offset 0
		.amdhsa_user_sgpr_private_segment_size 0
		.amdhsa_uses_dynamic_stack 0
		.amdhsa_system_sgpr_private_segment_wavefront_offset 0
		.amdhsa_system_sgpr_workgroup_id_x 1
		.amdhsa_system_sgpr_workgroup_id_y 0
		.amdhsa_system_sgpr_workgroup_id_z 0
		.amdhsa_system_sgpr_workgroup_info 0
		.amdhsa_system_vgpr_workitem_id 0
		.amdhsa_next_free_vgpr 4
		.amdhsa_next_free_sgpr 8
		.amdhsa_accum_offset 4
		.amdhsa_reserve_vcc 1
		.amdhsa_reserve_flat_scratch 0
		.amdhsa_float_round_mode_32 0
		.amdhsa_float_round_mode_16_64 0
		.amdhsa_float_denorm_mode_32 3
		.amdhsa_float_denorm_mode_16_64 3
		.amdhsa_dx10_clamp 1
		.amdhsa_ieee_mode 1
		.amdhsa_fp16_overflow 0
		.amdhsa_tg_split 0
		.amdhsa_exception_fp_ieee_invalid_op 0
		.amdhsa_exception_fp_denorm_src 0
		.amdhsa_exception_fp_ieee_div_zero 0
		.amdhsa_exception_fp_ieee_overflow 0
		.amdhsa_exception_fp_ieee_underflow 0
		.amdhsa_exception_fp_ieee_inexact 0
		.amdhsa_exception_int_div_zero 0
	.end_amdhsa_kernel
	.section	.text._Z18warp_reduce_kernelIfLj1ELj61EENSt9enable_ifIXsr10test_utilsE35device_test_enabled_for_warp_size_vIXT1_EEEvE4typeEPT_S4_,"axG",@progbits,_Z18warp_reduce_kernelIfLj1ELj61EENSt9enable_ifIXsr10test_utilsE35device_test_enabled_for_warp_size_vIXT1_EEEvE4typeEPT_S4_,comdat
.Lfunc_end0:
	.size	_Z18warp_reduce_kernelIfLj1ELj61EENSt9enable_ifIXsr10test_utilsE35device_test_enabled_for_warp_size_vIXT1_EEEvE4typeEPT_S4_, .Lfunc_end0-_Z18warp_reduce_kernelIfLj1ELj61EENSt9enable_ifIXsr10test_utilsE35device_test_enabled_for_warp_size_vIXT1_EEEvE4typeEPT_S4_
                                        ; -- End function
	.section	.AMDGPU.csdata,"",@progbits
; Kernel info:
; codeLenInByte = 472
; NumSgprs: 12
; NumVgprs: 4
; NumAgprs: 0
; TotalNumVgprs: 4
; ScratchSize: 0
; MemoryBound: 0
; FloatMode: 240
; IeeeMode: 1
; LDSByteSize: 244 bytes/workgroup (compile time only)
; SGPRBlocks: 1
; VGPRBlocks: 0
; NumSGPRsForWavesPerEU: 12
; NumVGPRsForWavesPerEU: 4
; AccumOffset: 4
; Occupancy: 8
; WaveLimiterHint : 0
; COMPUTE_PGM_RSRC2:SCRATCH_EN: 0
; COMPUTE_PGM_RSRC2:USER_SGPR: 6
; COMPUTE_PGM_RSRC2:TRAP_HANDLER: 0
; COMPUTE_PGM_RSRC2:TGID_X_EN: 1
; COMPUTE_PGM_RSRC2:TGID_Y_EN: 0
; COMPUTE_PGM_RSRC2:TGID_Z_EN: 0
; COMPUTE_PGM_RSRC2:TIDIG_COMP_CNT: 0
; COMPUTE_PGM_RSRC3_GFX90A:ACCUM_OFFSET: 0
; COMPUTE_PGM_RSRC3_GFX90A:TG_SPLIT: 0
	.section	.text._Z18warp_reduce_kernelIfLj61ELj61EENSt9enable_ifIXsr10test_utilsE35device_test_enabled_for_warp_size_vIXT1_EEEvE4typeEPT_S4_,"axG",@progbits,_Z18warp_reduce_kernelIfLj61ELj61EENSt9enable_ifIXsr10test_utilsE35device_test_enabled_for_warp_size_vIXT1_EEEvE4typeEPT_S4_,comdat
	.protected	_Z18warp_reduce_kernelIfLj61ELj61EENSt9enable_ifIXsr10test_utilsE35device_test_enabled_for_warp_size_vIXT1_EEEvE4typeEPT_S4_ ; -- Begin function _Z18warp_reduce_kernelIfLj61ELj61EENSt9enable_ifIXsr10test_utilsE35device_test_enabled_for_warp_size_vIXT1_EEEvE4typeEPT_S4_
	.globl	_Z18warp_reduce_kernelIfLj61ELj61EENSt9enable_ifIXsr10test_utilsE35device_test_enabled_for_warp_size_vIXT1_EEEvE4typeEPT_S4_
	.p2align	8
	.type	_Z18warp_reduce_kernelIfLj61ELj61EENSt9enable_ifIXsr10test_utilsE35device_test_enabled_for_warp_size_vIXT1_EEEvE4typeEPT_S4_,@function
_Z18warp_reduce_kernelIfLj61ELj61EENSt9enable_ifIXsr10test_utilsE35device_test_enabled_for_warp_size_vIXT1_EEEvE4typeEPT_S4_: ; @_Z18warp_reduce_kernelIfLj61ELj61EENSt9enable_ifIXsr10test_utilsE35device_test_enabled_for_warp_size_vIXT1_EEEvE4typeEPT_S4_
; %bb.0:
	s_load_dword s7, s[4:5], 0x1c
	s_load_dwordx4 s[0:3], s[4:5], 0x0
	v_mov_b32_e32 v3, 0
	s_waitcnt lgkmcnt(0)
	s_and_b32 s4, s7, 0xffff
	s_mul_i32 s6, s6, s4
	v_add_u32_e32 v2, s6, v0
	v_lshlrev_b64 v[4:5], 2, v[2:3]
	v_mov_b32_e32 v1, s1
	v_add_co_u32_e32 v4, vcc, s0, v4
	v_addc_co_u32_e32 v5, vcc, v1, v5, vcc
	global_load_dword v1, v[4:5], off
	v_mbcnt_lo_u32_b32 v3, -1, 0
	s_mov_b32 s1, 0x4325c54
	v_mul_u32_u24_e32 v4, 0x433, v0
	v_mbcnt_hi_u32_b32 v5, -1, v3
	v_lshrrev_b32_e32 v3, 16, v4
	v_mul_hi_u32 v4, v5, s1
	v_mul_u32_u24_e32 v4, 61, v4
	v_sub_u32_e32 v5, v5, v4
	s_movk_i32 s0, 0xf4
	v_lshlrev_b32_e32 v4, 2, v5
	v_mad_u32_u24 v4, v3, s0, v4
	v_cmp_gt_u32_e32 vcc, 29, v5
	s_waitcnt vmcnt(0)
	ds_write_b32 v4, v1
	; wave barrier
	s_and_saveexec_b64 s[0:1], vcc
	s_cbranch_execz .LBB1_2
; %bb.1:
	ds_read2_b32 v[6:7], v4 offset1:32
	s_waitcnt lgkmcnt(0)
	v_add_f32_e32 v1, v6, v7
.LBB1_2:
	s_or_b64 exec, exec, s[0:1]
	; wave barrier
	s_and_saveexec_b64 s[0:1], vcc
	s_cbranch_execz .LBB1_4
; %bb.3:
	ds_write_b32 v4, v1
.LBB1_4:
	s_or_b64 exec, exec, s[0:1]
	v_cmp_gt_u32_e32 vcc, 16, v5
	; wave barrier
	s_and_saveexec_b64 s[0:1], vcc
	s_cbranch_execz .LBB1_6
; %bb.5:
	ds_read2_b32 v[6:7], v4 offset1:16
	s_waitcnt lgkmcnt(0)
	v_add_f32_e32 v1, v6, v7
.LBB1_6:
	s_or_b64 exec, exec, s[0:1]
	; wave barrier
	s_and_saveexec_b64 s[0:1], vcc
	s_cbranch_execz .LBB1_8
; %bb.7:
	ds_write_b32 v4, v1
.LBB1_8:
	s_or_b64 exec, exec, s[0:1]
	v_cmp_gt_u32_e32 vcc, 8, v5
	;; [unrolled: 17-line block ×4, first 2 shown]
	; wave barrier
	s_and_saveexec_b64 s[0:1], vcc
	s_cbranch_execz .LBB1_18
; %bb.17:
	ds_read2_b32 v[6:7], v4 offset1:2
	s_waitcnt lgkmcnt(0)
	v_add_f32_e32 v1, v6, v7
.LBB1_18:
	s_or_b64 exec, exec, s[0:1]
	; wave barrier
	s_and_saveexec_b64 s[0:1], vcc
	s_cbranch_execz .LBB1_20
; %bb.19:
	ds_write_b32 v4, v1
.LBB1_20:
	s_or_b64 exec, exec, s[0:1]
	v_cmp_eq_u32_e32 vcc, 0, v5
	; wave barrier
	s_and_saveexec_b64 s[0:1], vcc
	s_cbranch_execz .LBB1_22
; %bb.21:
	v_mul_u32_u24_e32 v1, 0xf4, v3
	ds_read_b32 v5, v4
	ds_read_b32 v1, v1 offset:4
	s_waitcnt lgkmcnt(0)
	v_add_f32_e32 v1, v5, v1
.LBB1_22:
	s_or_b64 exec, exec, s[0:1]
	; wave barrier
	s_and_saveexec_b64 s[0:1], vcc
	s_cbranch_execz .LBB1_24
; %bb.23:
	ds_write_b32 v4, v1
.LBB1_24:
	s_or_b64 exec, exec, s[0:1]
	v_mul_lo_u16_e32 v3, 61, v3
	v_sub_u16_e32 v0, v0, v3
	v_cmp_eq_u16_e32 vcc, 0, v0
	; wave barrier
	s_and_saveexec_b64 s[0:1], vcc
	s_cbranch_execz .LBB1_26
; %bb.25:
	s_mov_b32 s0, 0x4325c53f
	v_mul_hi_u32 v0, v2, s0
	v_lshrrev_b32_e32 v0, 2, v0
	v_and_b32_e32 v0, 0x1ffffffc, v0
	global_store_dword v0, v1, s[2:3]
.LBB1_26:
	s_endpgm
	.section	.rodata,"a",@progbits
	.p2align	6, 0x0
	.amdhsa_kernel _Z18warp_reduce_kernelIfLj61ELj61EENSt9enable_ifIXsr10test_utilsE35device_test_enabled_for_warp_size_vIXT1_EEEvE4typeEPT_S4_
		.amdhsa_group_segment_fixed_size 244
		.amdhsa_private_segment_fixed_size 0
		.amdhsa_kernarg_size 272
		.amdhsa_user_sgpr_count 6
		.amdhsa_user_sgpr_private_segment_buffer 1
		.amdhsa_user_sgpr_dispatch_ptr 0
		.amdhsa_user_sgpr_queue_ptr 0
		.amdhsa_user_sgpr_kernarg_segment_ptr 1
		.amdhsa_user_sgpr_dispatch_id 0
		.amdhsa_user_sgpr_flat_scratch_init 0
		.amdhsa_user_sgpr_kernarg_preload_length 0
		.amdhsa_user_sgpr_kernarg_preload_offset 0
		.amdhsa_user_sgpr_private_segment_size 0
		.amdhsa_uses_dynamic_stack 0
		.amdhsa_system_sgpr_private_segment_wavefront_offset 0
		.amdhsa_system_sgpr_workgroup_id_x 1
		.amdhsa_system_sgpr_workgroup_id_y 0
		.amdhsa_system_sgpr_workgroup_id_z 0
		.amdhsa_system_sgpr_workgroup_info 0
		.amdhsa_system_vgpr_workitem_id 0
		.amdhsa_next_free_vgpr 8
		.amdhsa_next_free_sgpr 8
		.amdhsa_accum_offset 8
		.amdhsa_reserve_vcc 1
		.amdhsa_reserve_flat_scratch 0
		.amdhsa_float_round_mode_32 0
		.amdhsa_float_round_mode_16_64 0
		.amdhsa_float_denorm_mode_32 3
		.amdhsa_float_denorm_mode_16_64 3
		.amdhsa_dx10_clamp 1
		.amdhsa_ieee_mode 1
		.amdhsa_fp16_overflow 0
		.amdhsa_tg_split 0
		.amdhsa_exception_fp_ieee_invalid_op 0
		.amdhsa_exception_fp_denorm_src 0
		.amdhsa_exception_fp_ieee_div_zero 0
		.amdhsa_exception_fp_ieee_overflow 0
		.amdhsa_exception_fp_ieee_underflow 0
		.amdhsa_exception_fp_ieee_inexact 0
		.amdhsa_exception_int_div_zero 0
	.end_amdhsa_kernel
	.section	.text._Z18warp_reduce_kernelIfLj61ELj61EENSt9enable_ifIXsr10test_utilsE35device_test_enabled_for_warp_size_vIXT1_EEEvE4typeEPT_S4_,"axG",@progbits,_Z18warp_reduce_kernelIfLj61ELj61EENSt9enable_ifIXsr10test_utilsE35device_test_enabled_for_warp_size_vIXT1_EEEvE4typeEPT_S4_,comdat
.Lfunc_end1:
	.size	_Z18warp_reduce_kernelIfLj61ELj61EENSt9enable_ifIXsr10test_utilsE35device_test_enabled_for_warp_size_vIXT1_EEEvE4typeEPT_S4_, .Lfunc_end1-_Z18warp_reduce_kernelIfLj61ELj61EENSt9enable_ifIXsr10test_utilsE35device_test_enabled_for_warp_size_vIXT1_EEEvE4typeEPT_S4_
                                        ; -- End function
	.section	.AMDGPU.csdata,"",@progbits
; Kernel info:
; codeLenInByte = 536
; NumSgprs: 12
; NumVgprs: 8
; NumAgprs: 0
; TotalNumVgprs: 8
; ScratchSize: 0
; MemoryBound: 0
; FloatMode: 240
; IeeeMode: 1
; LDSByteSize: 244 bytes/workgroup (compile time only)
; SGPRBlocks: 1
; VGPRBlocks: 0
; NumSGPRsForWavesPerEU: 12
; NumVGPRsForWavesPerEU: 8
; AccumOffset: 8
; Occupancy: 8
; WaveLimiterHint : 0
; COMPUTE_PGM_RSRC2:SCRATCH_EN: 0
; COMPUTE_PGM_RSRC2:USER_SGPR: 6
; COMPUTE_PGM_RSRC2:TRAP_HANDLER: 0
; COMPUTE_PGM_RSRC2:TGID_X_EN: 1
; COMPUTE_PGM_RSRC2:TGID_Y_EN: 0
; COMPUTE_PGM_RSRC2:TGID_Z_EN: 0
; COMPUTE_PGM_RSRC2:TIDIG_COMP_CNT: 0
; COMPUTE_PGM_RSRC3_GFX90A:ACCUM_OFFSET: 1
; COMPUTE_PGM_RSRC3_GFX90A:TG_SPLIT: 0
	.section	.text._Z18warp_reduce_kernelIfLj1ELj37EENSt9enable_ifIXsr10test_utilsE35device_test_enabled_for_warp_size_vIXT1_EEEvE4typeEPT_S4_,"axG",@progbits,_Z18warp_reduce_kernelIfLj1ELj37EENSt9enable_ifIXsr10test_utilsE35device_test_enabled_for_warp_size_vIXT1_EEEvE4typeEPT_S4_,comdat
	.protected	_Z18warp_reduce_kernelIfLj1ELj37EENSt9enable_ifIXsr10test_utilsE35device_test_enabled_for_warp_size_vIXT1_EEEvE4typeEPT_S4_ ; -- Begin function _Z18warp_reduce_kernelIfLj1ELj37EENSt9enable_ifIXsr10test_utilsE35device_test_enabled_for_warp_size_vIXT1_EEEvE4typeEPT_S4_
	.globl	_Z18warp_reduce_kernelIfLj1ELj37EENSt9enable_ifIXsr10test_utilsE35device_test_enabled_for_warp_size_vIXT1_EEEvE4typeEPT_S4_
	.p2align	8
	.type	_Z18warp_reduce_kernelIfLj1ELj37EENSt9enable_ifIXsr10test_utilsE35device_test_enabled_for_warp_size_vIXT1_EEEvE4typeEPT_S4_,@function
_Z18warp_reduce_kernelIfLj1ELj37EENSt9enable_ifIXsr10test_utilsE35device_test_enabled_for_warp_size_vIXT1_EEEvE4typeEPT_S4_: ; @_Z18warp_reduce_kernelIfLj1ELj37EENSt9enable_ifIXsr10test_utilsE35device_test_enabled_for_warp_size_vIXT1_EEEvE4typeEPT_S4_
; %bb.0:
	s_load_dword s7, s[4:5], 0x1c
	s_load_dwordx4 s[0:3], s[4:5], 0x0
	s_mov_b32 s5, 0
	v_mbcnt_lo_u32_b32 v0, -1, 0
	v_mbcnt_hi_u32_b32 v0, -1, v0
	s_waitcnt lgkmcnt(0)
	s_and_b32 s4, s7, 0xffff
	s_mul_i32 s4, s6, s4
	s_lshl_b64 s[6:7], s[4:5], 2
	s_add_u32 s0, s0, s6
	s_addc_u32 s1, s1, s7
	s_load_dword s0, s[0:1], 0x0
	s_mov_b32 s1, 0x6eb3e46
	v_mul_hi_u32 v1, v0, s1
	v_mul_u32_u24_e32 v1, 37, v1
	v_sub_u32_e32 v1, v0, v1
	v_cmp_lt_u32_e32 vcc, 4, v1
	v_readfirstlane_b32 s5, v1
	v_lshlrev_b32_e32 v0, 2, v1
	s_waitcnt lgkmcnt(0)
	v_mov_b32_e32 v2, s0
	s_and_b64 s[6:7], vcc, exec
	v_cmp_gt_u32_e32 vcc, 5, v1
	ds_write_b32 v0, v2
	; wave barrier
	s_cbranch_scc1 .LBB2_2
; %bb.1:
	ds_read2_b32 v[2:3], v0 offset1:32
	s_waitcnt lgkmcnt(0)
	v_add_f32_e32 v1, v2, v3
	s_branch .LBB2_3
.LBB2_2:
	v_mov_b32_e32 v1, s0
.LBB2_3:
	s_andn2_b64 vcc, exec, vcc
	; wave barrier
	s_cbranch_vccnz .LBB2_5
; %bb.4:
	ds_write_b32 v0, v1
.LBB2_5:
	s_cmp_lt_u32 s5, 16
	s_cselect_b64 s[0:1], -1, 0
	s_cmp_gt_u32 s5, 15
	; wave barrier
	s_cbranch_scc1 .LBB2_7
; %bb.6:
	ds_read2_b32 v[2:3], v0 offset1:16
	s_waitcnt lgkmcnt(0)
	v_add_f32_e32 v1, v2, v3
.LBB2_7:
	s_andn2_b64 vcc, exec, s[0:1]
	; wave barrier
	s_cbranch_vccnz .LBB2_9
; %bb.8:
	ds_write_b32 v0, v1
.LBB2_9:
	s_cmp_lt_u32 s5, 8
	s_cselect_b64 s[0:1], -1, 0
	s_cmp_gt_u32 s5, 7
	; wave barrier
	s_cbranch_scc1 .LBB2_11
; %bb.10:
	ds_read2_b32 v[2:3], v0 offset1:8
	s_waitcnt lgkmcnt(0)
	v_add_f32_e32 v1, v2, v3
.LBB2_11:
	s_andn2_b64 vcc, exec, s[0:1]
	;; [unrolled: 16-line block ×4, first 2 shown]
	; wave barrier
	s_cbranch_vccnz .LBB2_21
; %bb.20:
	ds_write_b32 v0, v1
.LBB2_21:
	s_cmp_eq_u32 s5, 0
	s_cselect_b64 s[0:1], -1, 0
	s_cmp_lg_u32 s5, 0
	; wave barrier
	s_cbranch_scc1 .LBB2_23
; %bb.22:
	v_mov_b32_e32 v1, 0
	ds_read_b32 v2, v0
	ds_read_b32 v1, v1 offset:4
	s_waitcnt lgkmcnt(0)
	v_add_f32_e32 v1, v2, v1
.LBB2_23:
	s_andn2_b64 vcc, exec, s[0:1]
	; wave barrier
	s_cbranch_vccnz .LBB2_25
; %bb.24:
	ds_write_b32 v0, v1
.LBB2_25:
	; wave barrier
	s_branch .LBB2_27
; %bb.26:
	s_endpgm
.LBB2_27:
	s_mul_hi_u32 s0, s4, 0xbacf914d
	s_sub_i32 s1, s4, s0
	s_lshr_b32 s1, s1, 1
	s_add_i32 s1, s1, s0
	s_lshr_b32 s0, s1, 3
	s_and_b32 s0, s0, 0x1ffffffc
	v_mov_b32_e32 v0, s0
	global_store_dword v0, v1, s[2:3]
	s_endpgm
	.section	.rodata,"a",@progbits
	.p2align	6, 0x0
	.amdhsa_kernel _Z18warp_reduce_kernelIfLj1ELj37EENSt9enable_ifIXsr10test_utilsE35device_test_enabled_for_warp_size_vIXT1_EEEvE4typeEPT_S4_
		.amdhsa_group_segment_fixed_size 148
		.amdhsa_private_segment_fixed_size 0
		.amdhsa_kernarg_size 272
		.amdhsa_user_sgpr_count 6
		.amdhsa_user_sgpr_private_segment_buffer 1
		.amdhsa_user_sgpr_dispatch_ptr 0
		.amdhsa_user_sgpr_queue_ptr 0
		.amdhsa_user_sgpr_kernarg_segment_ptr 1
		.amdhsa_user_sgpr_dispatch_id 0
		.amdhsa_user_sgpr_flat_scratch_init 0
		.amdhsa_user_sgpr_kernarg_preload_length 0
		.amdhsa_user_sgpr_kernarg_preload_offset 0
		.amdhsa_user_sgpr_private_segment_size 0
		.amdhsa_uses_dynamic_stack 0
		.amdhsa_system_sgpr_private_segment_wavefront_offset 0
		.amdhsa_system_sgpr_workgroup_id_x 1
		.amdhsa_system_sgpr_workgroup_id_y 0
		.amdhsa_system_sgpr_workgroup_id_z 0
		.amdhsa_system_sgpr_workgroup_info 0
		.amdhsa_system_vgpr_workitem_id 0
		.amdhsa_next_free_vgpr 4
		.amdhsa_next_free_sgpr 8
		.amdhsa_accum_offset 4
		.amdhsa_reserve_vcc 1
		.amdhsa_reserve_flat_scratch 0
		.amdhsa_float_round_mode_32 0
		.amdhsa_float_round_mode_16_64 0
		.amdhsa_float_denorm_mode_32 3
		.amdhsa_float_denorm_mode_16_64 3
		.amdhsa_dx10_clamp 1
		.amdhsa_ieee_mode 1
		.amdhsa_fp16_overflow 0
		.amdhsa_tg_split 0
		.amdhsa_exception_fp_ieee_invalid_op 0
		.amdhsa_exception_fp_denorm_src 0
		.amdhsa_exception_fp_ieee_div_zero 0
		.amdhsa_exception_fp_ieee_overflow 0
		.amdhsa_exception_fp_ieee_underflow 0
		.amdhsa_exception_fp_ieee_inexact 0
		.amdhsa_exception_int_div_zero 0
	.end_amdhsa_kernel
	.section	.text._Z18warp_reduce_kernelIfLj1ELj37EENSt9enable_ifIXsr10test_utilsE35device_test_enabled_for_warp_size_vIXT1_EEEvE4typeEPT_S4_,"axG",@progbits,_Z18warp_reduce_kernelIfLj1ELj37EENSt9enable_ifIXsr10test_utilsE35device_test_enabled_for_warp_size_vIXT1_EEEvE4typeEPT_S4_,comdat
.Lfunc_end2:
	.size	_Z18warp_reduce_kernelIfLj1ELj37EENSt9enable_ifIXsr10test_utilsE35device_test_enabled_for_warp_size_vIXT1_EEEvE4typeEPT_S4_, .Lfunc_end2-_Z18warp_reduce_kernelIfLj1ELj37EENSt9enable_ifIXsr10test_utilsE35device_test_enabled_for_warp_size_vIXT1_EEEvE4typeEPT_S4_
                                        ; -- End function
	.section	.AMDGPU.csdata,"",@progbits
; Kernel info:
; codeLenInByte = 484
; NumSgprs: 12
; NumVgprs: 4
; NumAgprs: 0
; TotalNumVgprs: 4
; ScratchSize: 0
; MemoryBound: 0
; FloatMode: 240
; IeeeMode: 1
; LDSByteSize: 148 bytes/workgroup (compile time only)
; SGPRBlocks: 1
; VGPRBlocks: 0
; NumSGPRsForWavesPerEU: 12
; NumVGPRsForWavesPerEU: 4
; AccumOffset: 4
; Occupancy: 8
; WaveLimiterHint : 0
; COMPUTE_PGM_RSRC2:SCRATCH_EN: 0
; COMPUTE_PGM_RSRC2:USER_SGPR: 6
; COMPUTE_PGM_RSRC2:TRAP_HANDLER: 0
; COMPUTE_PGM_RSRC2:TGID_X_EN: 1
; COMPUTE_PGM_RSRC2:TGID_Y_EN: 0
; COMPUTE_PGM_RSRC2:TGID_Z_EN: 0
; COMPUTE_PGM_RSRC2:TIDIG_COMP_CNT: 0
; COMPUTE_PGM_RSRC3_GFX90A:ACCUM_OFFSET: 0
; COMPUTE_PGM_RSRC3_GFX90A:TG_SPLIT: 0
	.section	.text._Z18warp_reduce_kernelIfLj37ELj37EENSt9enable_ifIXsr10test_utilsE35device_test_enabled_for_warp_size_vIXT1_EEEvE4typeEPT_S4_,"axG",@progbits,_Z18warp_reduce_kernelIfLj37ELj37EENSt9enable_ifIXsr10test_utilsE35device_test_enabled_for_warp_size_vIXT1_EEEvE4typeEPT_S4_,comdat
	.protected	_Z18warp_reduce_kernelIfLj37ELj37EENSt9enable_ifIXsr10test_utilsE35device_test_enabled_for_warp_size_vIXT1_EEEvE4typeEPT_S4_ ; -- Begin function _Z18warp_reduce_kernelIfLj37ELj37EENSt9enable_ifIXsr10test_utilsE35device_test_enabled_for_warp_size_vIXT1_EEEvE4typeEPT_S4_
	.globl	_Z18warp_reduce_kernelIfLj37ELj37EENSt9enable_ifIXsr10test_utilsE35device_test_enabled_for_warp_size_vIXT1_EEEvE4typeEPT_S4_
	.p2align	8
	.type	_Z18warp_reduce_kernelIfLj37ELj37EENSt9enable_ifIXsr10test_utilsE35device_test_enabled_for_warp_size_vIXT1_EEEvE4typeEPT_S4_,@function
_Z18warp_reduce_kernelIfLj37ELj37EENSt9enable_ifIXsr10test_utilsE35device_test_enabled_for_warp_size_vIXT1_EEEvE4typeEPT_S4_: ; @_Z18warp_reduce_kernelIfLj37ELj37EENSt9enable_ifIXsr10test_utilsE35device_test_enabled_for_warp_size_vIXT1_EEEvE4typeEPT_S4_
; %bb.0:
	s_load_dword s7, s[4:5], 0x1c
	s_load_dwordx4 s[0:3], s[4:5], 0x0
	v_mov_b32_e32 v3, 0
	s_waitcnt lgkmcnt(0)
	s_and_b32 s4, s7, 0xffff
	s_mul_i32 s6, s6, s4
	v_add_u32_e32 v2, s6, v0
	v_lshlrev_b64 v[4:5], 2, v[2:3]
	v_mov_b32_e32 v1, s1
	v_add_co_u32_e32 v4, vcc, s0, v4
	v_addc_co_u32_e32 v5, vcc, v1, v5, vcc
	global_load_dword v1, v[4:5], off
	v_mbcnt_lo_u32_b32 v3, -1, 0
	s_mov_b32 s1, 0x6eb3e46
	v_mul_u32_u24_e32 v4, 0x6ec, v0
	v_mbcnt_hi_u32_b32 v5, -1, v3
	v_lshrrev_b32_e32 v3, 16, v4
	v_mul_hi_u32 v4, v5, s1
	v_mul_u32_u24_e32 v4, 37, v4
	v_sub_u32_e32 v5, v5, v4
	s_movk_i32 s0, 0x94
	v_lshlrev_b32_e32 v4, 2, v5
	v_mad_u32_u24 v4, v3, s0, v4
	v_cmp_gt_u32_e32 vcc, 5, v5
	s_waitcnt vmcnt(0)
	ds_write_b32 v4, v1
	; wave barrier
	s_and_saveexec_b64 s[0:1], vcc
	s_cbranch_execz .LBB3_2
; %bb.1:
	ds_read2_b32 v[6:7], v4 offset1:32
	s_waitcnt lgkmcnt(0)
	v_add_f32_e32 v1, v6, v7
.LBB3_2:
	s_or_b64 exec, exec, s[0:1]
	; wave barrier
	s_and_saveexec_b64 s[0:1], vcc
	s_cbranch_execz .LBB3_4
; %bb.3:
	ds_write_b32 v4, v1
.LBB3_4:
	s_or_b64 exec, exec, s[0:1]
	v_cmp_gt_u32_e32 vcc, 16, v5
	; wave barrier
	s_and_saveexec_b64 s[0:1], vcc
	s_cbranch_execz .LBB3_6
; %bb.5:
	ds_read2_b32 v[6:7], v4 offset1:16
	s_waitcnt lgkmcnt(0)
	v_add_f32_e32 v1, v6, v7
.LBB3_6:
	s_or_b64 exec, exec, s[0:1]
	; wave barrier
	s_and_saveexec_b64 s[0:1], vcc
	s_cbranch_execz .LBB3_8
; %bb.7:
	ds_write_b32 v4, v1
.LBB3_8:
	s_or_b64 exec, exec, s[0:1]
	v_cmp_gt_u32_e32 vcc, 8, v5
	;; [unrolled: 17-line block ×4, first 2 shown]
	; wave barrier
	s_and_saveexec_b64 s[0:1], vcc
	s_cbranch_execz .LBB3_18
; %bb.17:
	ds_read2_b32 v[6:7], v4 offset1:2
	s_waitcnt lgkmcnt(0)
	v_add_f32_e32 v1, v6, v7
.LBB3_18:
	s_or_b64 exec, exec, s[0:1]
	; wave barrier
	s_and_saveexec_b64 s[0:1], vcc
	s_cbranch_execz .LBB3_20
; %bb.19:
	ds_write_b32 v4, v1
.LBB3_20:
	s_or_b64 exec, exec, s[0:1]
	v_cmp_eq_u32_e32 vcc, 0, v5
	; wave barrier
	s_and_saveexec_b64 s[0:1], vcc
	s_cbranch_execz .LBB3_22
; %bb.21:
	v_mul_u32_u24_e32 v1, 0x94, v3
	ds_read_b32 v5, v4
	ds_read_b32 v1, v1 offset:4
	s_waitcnt lgkmcnt(0)
	v_add_f32_e32 v1, v5, v1
.LBB3_22:
	s_or_b64 exec, exec, s[0:1]
	; wave barrier
	s_and_saveexec_b64 s[0:1], vcc
	s_cbranch_execz .LBB3_24
; %bb.23:
	ds_write_b32 v4, v1
.LBB3_24:
	s_or_b64 exec, exec, s[0:1]
	v_mul_lo_u16_e32 v3, 37, v3
	v_sub_u16_e32 v0, v0, v3
	v_cmp_eq_u16_e32 vcc, 0, v0
	; wave barrier
	s_and_saveexec_b64 s[0:1], vcc
	s_cbranch_execz .LBB3_26
; %bb.25:
	s_mov_b32 s0, 0xbacf914d
	v_mul_hi_u32 v0, v2, s0
	v_sub_u32_e32 v2, v2, v0
	v_lshrrev_b32_e32 v2, 1, v2
	v_add_u32_e32 v0, v2, v0
	v_lshrrev_b32_e32 v0, 3, v0
	v_and_b32_e32 v0, 0x1ffffffc, v0
	global_store_dword v0, v1, s[2:3]
.LBB3_26:
	s_endpgm
	.section	.rodata,"a",@progbits
	.p2align	6, 0x0
	.amdhsa_kernel _Z18warp_reduce_kernelIfLj37ELj37EENSt9enable_ifIXsr10test_utilsE35device_test_enabled_for_warp_size_vIXT1_EEEvE4typeEPT_S4_
		.amdhsa_group_segment_fixed_size 148
		.amdhsa_private_segment_fixed_size 0
		.amdhsa_kernarg_size 272
		.amdhsa_user_sgpr_count 6
		.amdhsa_user_sgpr_private_segment_buffer 1
		.amdhsa_user_sgpr_dispatch_ptr 0
		.amdhsa_user_sgpr_queue_ptr 0
		.amdhsa_user_sgpr_kernarg_segment_ptr 1
		.amdhsa_user_sgpr_dispatch_id 0
		.amdhsa_user_sgpr_flat_scratch_init 0
		.amdhsa_user_sgpr_kernarg_preload_length 0
		.amdhsa_user_sgpr_kernarg_preload_offset 0
		.amdhsa_user_sgpr_private_segment_size 0
		.amdhsa_uses_dynamic_stack 0
		.amdhsa_system_sgpr_private_segment_wavefront_offset 0
		.amdhsa_system_sgpr_workgroup_id_x 1
		.amdhsa_system_sgpr_workgroup_id_y 0
		.amdhsa_system_sgpr_workgroup_id_z 0
		.amdhsa_system_sgpr_workgroup_info 0
		.amdhsa_system_vgpr_workitem_id 0
		.amdhsa_next_free_vgpr 8
		.amdhsa_next_free_sgpr 8
		.amdhsa_accum_offset 8
		.amdhsa_reserve_vcc 1
		.amdhsa_reserve_flat_scratch 0
		.amdhsa_float_round_mode_32 0
		.amdhsa_float_round_mode_16_64 0
		.amdhsa_float_denorm_mode_32 3
		.amdhsa_float_denorm_mode_16_64 3
		.amdhsa_dx10_clamp 1
		.amdhsa_ieee_mode 1
		.amdhsa_fp16_overflow 0
		.amdhsa_tg_split 0
		.amdhsa_exception_fp_ieee_invalid_op 0
		.amdhsa_exception_fp_denorm_src 0
		.amdhsa_exception_fp_ieee_div_zero 0
		.amdhsa_exception_fp_ieee_overflow 0
		.amdhsa_exception_fp_ieee_underflow 0
		.amdhsa_exception_fp_ieee_inexact 0
		.amdhsa_exception_int_div_zero 0
	.end_amdhsa_kernel
	.section	.text._Z18warp_reduce_kernelIfLj37ELj37EENSt9enable_ifIXsr10test_utilsE35device_test_enabled_for_warp_size_vIXT1_EEEvE4typeEPT_S4_,"axG",@progbits,_Z18warp_reduce_kernelIfLj37ELj37EENSt9enable_ifIXsr10test_utilsE35device_test_enabled_for_warp_size_vIXT1_EEEvE4typeEPT_S4_,comdat
.Lfunc_end3:
	.size	_Z18warp_reduce_kernelIfLj37ELj37EENSt9enable_ifIXsr10test_utilsE35device_test_enabled_for_warp_size_vIXT1_EEEvE4typeEPT_S4_, .Lfunc_end3-_Z18warp_reduce_kernelIfLj37ELj37EENSt9enable_ifIXsr10test_utilsE35device_test_enabled_for_warp_size_vIXT1_EEEvE4typeEPT_S4_
                                        ; -- End function
	.section	.AMDGPU.csdata,"",@progbits
; Kernel info:
; codeLenInByte = 548
; NumSgprs: 12
; NumVgprs: 8
; NumAgprs: 0
; TotalNumVgprs: 8
; ScratchSize: 0
; MemoryBound: 0
; FloatMode: 240
; IeeeMode: 1
; LDSByteSize: 148 bytes/workgroup (compile time only)
; SGPRBlocks: 1
; VGPRBlocks: 0
; NumSGPRsForWavesPerEU: 12
; NumVGPRsForWavesPerEU: 8
; AccumOffset: 8
; Occupancy: 8
; WaveLimiterHint : 0
; COMPUTE_PGM_RSRC2:SCRATCH_EN: 0
; COMPUTE_PGM_RSRC2:USER_SGPR: 6
; COMPUTE_PGM_RSRC2:TRAP_HANDLER: 0
; COMPUTE_PGM_RSRC2:TGID_X_EN: 1
; COMPUTE_PGM_RSRC2:TGID_Y_EN: 0
; COMPUTE_PGM_RSRC2:TGID_Z_EN: 0
; COMPUTE_PGM_RSRC2:TIDIG_COMP_CNT: 0
; COMPUTE_PGM_RSRC3_GFX90A:ACCUM_OFFSET: 1
; COMPUTE_PGM_RSRC3_GFX90A:TG_SPLIT: 0
	.section	.text._Z18warp_reduce_kernelIfLj30ELj15EENSt9enable_ifIXsr10test_utilsE35device_test_enabled_for_warp_size_vIXT1_EEEvE4typeEPT_S4_,"axG",@progbits,_Z18warp_reduce_kernelIfLj30ELj15EENSt9enable_ifIXsr10test_utilsE35device_test_enabled_for_warp_size_vIXT1_EEEvE4typeEPT_S4_,comdat
	.protected	_Z18warp_reduce_kernelIfLj30ELj15EENSt9enable_ifIXsr10test_utilsE35device_test_enabled_for_warp_size_vIXT1_EEEvE4typeEPT_S4_ ; -- Begin function _Z18warp_reduce_kernelIfLj30ELj15EENSt9enable_ifIXsr10test_utilsE35device_test_enabled_for_warp_size_vIXT1_EEEvE4typeEPT_S4_
	.globl	_Z18warp_reduce_kernelIfLj30ELj15EENSt9enable_ifIXsr10test_utilsE35device_test_enabled_for_warp_size_vIXT1_EEEvE4typeEPT_S4_
	.p2align	8
	.type	_Z18warp_reduce_kernelIfLj30ELj15EENSt9enable_ifIXsr10test_utilsE35device_test_enabled_for_warp_size_vIXT1_EEEvE4typeEPT_S4_,@function
_Z18warp_reduce_kernelIfLj30ELj15EENSt9enable_ifIXsr10test_utilsE35device_test_enabled_for_warp_size_vIXT1_EEEvE4typeEPT_S4_: ; @_Z18warp_reduce_kernelIfLj30ELj15EENSt9enable_ifIXsr10test_utilsE35device_test_enabled_for_warp_size_vIXT1_EEEvE4typeEPT_S4_
; %bb.0:
	s_load_dword s7, s[4:5], 0x1c
	s_load_dwordx4 s[0:3], s[4:5], 0x0
	v_mov_b32_e32 v3, 0
	s_waitcnt lgkmcnt(0)
	s_and_b32 s4, s7, 0xffff
	s_mul_i32 s6, s6, s4
	v_add_u32_e32 v2, s6, v0
	v_lshlrev_b64 v[4:5], 2, v[2:3]
	v_mov_b32_e32 v1, s1
	v_add_co_u32_e32 v4, vcc, s0, v4
	v_addc_co_u32_e32 v5, vcc, v1, v5, vcc
	global_load_dword v1, v[4:5], off
	v_mbcnt_lo_u32_b32 v3, -1, 0
	s_mov_b32 s0, 0x11111112
	v_mul_u32_u24_e32 v4, 0x1112, v0
	v_mbcnt_hi_u32_b32 v5, -1, v3
	v_lshrrev_b32_e32 v3, 16, v4
	v_mul_hi_u32 v4, v5, s0
	v_mul_u32_u24_e32 v4, 15, v4
	v_sub_u32_e32 v5, v5, v4
	v_lshlrev_b32_e32 v4, 2, v5
	v_mad_u32_u24 v4, v3, 60, v4
	v_cmp_gt_u32_e32 vcc, 7, v5
	s_waitcnt vmcnt(0)
	ds_write_b32 v4, v1
	; wave barrier
	s_and_saveexec_b64 s[0:1], vcc
	s_cbranch_execz .LBB4_2
; %bb.1:
	ds_read2_b32 v[6:7], v4 offset1:8
	s_waitcnt lgkmcnt(0)
	v_add_f32_e32 v1, v6, v7
.LBB4_2:
	s_or_b64 exec, exec, s[0:1]
	; wave barrier
	s_and_saveexec_b64 s[0:1], vcc
	s_cbranch_execz .LBB4_4
; %bb.3:
	ds_write_b32 v4, v1
.LBB4_4:
	s_or_b64 exec, exec, s[0:1]
	v_cmp_gt_u32_e32 vcc, 4, v5
	; wave barrier
	s_and_saveexec_b64 s[0:1], vcc
	s_cbranch_execz .LBB4_6
; %bb.5:
	ds_read2_b32 v[6:7], v4 offset1:4
	s_waitcnt lgkmcnt(0)
	v_add_f32_e32 v1, v6, v7
.LBB4_6:
	s_or_b64 exec, exec, s[0:1]
	; wave barrier
	s_and_saveexec_b64 s[0:1], vcc
	s_cbranch_execz .LBB4_8
; %bb.7:
	ds_write_b32 v4, v1
.LBB4_8:
	s_or_b64 exec, exec, s[0:1]
	v_cmp_gt_u32_e32 vcc, 2, v5
	; wave barrier
	s_and_saveexec_b64 s[0:1], vcc
	s_cbranch_execz .LBB4_10
; %bb.9:
	ds_read2_b32 v[6:7], v4 offset1:2
	s_waitcnt lgkmcnt(0)
	v_add_f32_e32 v1, v6, v7
.LBB4_10:
	s_or_b64 exec, exec, s[0:1]
	; wave barrier
	s_and_saveexec_b64 s[0:1], vcc
	s_cbranch_execz .LBB4_12
; %bb.11:
	ds_write_b32 v4, v1
.LBB4_12:
	s_or_b64 exec, exec, s[0:1]
	v_cmp_eq_u32_e32 vcc, 0, v5
	; wave barrier
	s_and_saveexec_b64 s[0:1], vcc
	s_cbranch_execz .LBB4_14
; %bb.13:
	v_mul_u32_u24_e32 v1, 60, v3
	ds_read_b32 v5, v4
	ds_read_b32 v1, v1 offset:4
	s_waitcnt lgkmcnt(0)
	v_add_f32_e32 v1, v5, v1
.LBB4_14:
	s_or_b64 exec, exec, s[0:1]
	; wave barrier
	s_and_saveexec_b64 s[0:1], vcc
	s_cbranch_execz .LBB4_16
; %bb.15:
	ds_write_b32 v4, v1
.LBB4_16:
	s_or_b64 exec, exec, s[0:1]
	v_mul_lo_u16_e32 v3, 15, v3
	v_sub_u16_e32 v0, v0, v3
	v_cmp_eq_u16_e32 vcc, 0, v0
	; wave barrier
	s_and_saveexec_b64 s[0:1], vcc
	s_cbranch_execz .LBB4_18
; %bb.17:
	s_mov_b32 s0, 0x88888889
	v_mul_hi_u32 v0, v2, s0
	v_lshrrev_b32_e32 v0, 1, v0
	v_and_b32_e32 v0, 0x7ffffffc, v0
	global_store_dword v0, v1, s[2:3]
.LBB4_18:
	s_endpgm
	.section	.rodata,"a",@progbits
	.p2align	6, 0x0
	.amdhsa_kernel _Z18warp_reduce_kernelIfLj30ELj15EENSt9enable_ifIXsr10test_utilsE35device_test_enabled_for_warp_size_vIXT1_EEEvE4typeEPT_S4_
		.amdhsa_group_segment_fixed_size 120
		.amdhsa_private_segment_fixed_size 0
		.amdhsa_kernarg_size 272
		.amdhsa_user_sgpr_count 6
		.amdhsa_user_sgpr_private_segment_buffer 1
		.amdhsa_user_sgpr_dispatch_ptr 0
		.amdhsa_user_sgpr_queue_ptr 0
		.amdhsa_user_sgpr_kernarg_segment_ptr 1
		.amdhsa_user_sgpr_dispatch_id 0
		.amdhsa_user_sgpr_flat_scratch_init 0
		.amdhsa_user_sgpr_kernarg_preload_length 0
		.amdhsa_user_sgpr_kernarg_preload_offset 0
		.amdhsa_user_sgpr_private_segment_size 0
		.amdhsa_uses_dynamic_stack 0
		.amdhsa_system_sgpr_private_segment_wavefront_offset 0
		.amdhsa_system_sgpr_workgroup_id_x 1
		.amdhsa_system_sgpr_workgroup_id_y 0
		.amdhsa_system_sgpr_workgroup_id_z 0
		.amdhsa_system_sgpr_workgroup_info 0
		.amdhsa_system_vgpr_workitem_id 0
		.amdhsa_next_free_vgpr 8
		.amdhsa_next_free_sgpr 8
		.amdhsa_accum_offset 8
		.amdhsa_reserve_vcc 1
		.amdhsa_reserve_flat_scratch 0
		.amdhsa_float_round_mode_32 0
		.amdhsa_float_round_mode_16_64 0
		.amdhsa_float_denorm_mode_32 3
		.amdhsa_float_denorm_mode_16_64 3
		.amdhsa_dx10_clamp 1
		.amdhsa_ieee_mode 1
		.amdhsa_fp16_overflow 0
		.amdhsa_tg_split 0
		.amdhsa_exception_fp_ieee_invalid_op 0
		.amdhsa_exception_fp_denorm_src 0
		.amdhsa_exception_fp_ieee_div_zero 0
		.amdhsa_exception_fp_ieee_overflow 0
		.amdhsa_exception_fp_ieee_underflow 0
		.amdhsa_exception_fp_ieee_inexact 0
		.amdhsa_exception_int_div_zero 0
	.end_amdhsa_kernel
	.section	.text._Z18warp_reduce_kernelIfLj30ELj15EENSt9enable_ifIXsr10test_utilsE35device_test_enabled_for_warp_size_vIXT1_EEEvE4typeEPT_S4_,"axG",@progbits,_Z18warp_reduce_kernelIfLj30ELj15EENSt9enable_ifIXsr10test_utilsE35device_test_enabled_for_warp_size_vIXT1_EEEvE4typeEPT_S4_,comdat
.Lfunc_end4:
	.size	_Z18warp_reduce_kernelIfLj30ELj15EENSt9enable_ifIXsr10test_utilsE35device_test_enabled_for_warp_size_vIXT1_EEEvE4typeEPT_S4_, .Lfunc_end4-_Z18warp_reduce_kernelIfLj30ELj15EENSt9enable_ifIXsr10test_utilsE35device_test_enabled_for_warp_size_vIXT1_EEEvE4typeEPT_S4_
                                        ; -- End function
	.section	.AMDGPU.csdata,"",@progbits
; Kernel info:
; codeLenInByte = 424
; NumSgprs: 12
; NumVgprs: 8
; NumAgprs: 0
; TotalNumVgprs: 8
; ScratchSize: 0
; MemoryBound: 0
; FloatMode: 240
; IeeeMode: 1
; LDSByteSize: 120 bytes/workgroup (compile time only)
; SGPRBlocks: 1
; VGPRBlocks: 0
; NumSGPRsForWavesPerEU: 12
; NumVGPRsForWavesPerEU: 8
; AccumOffset: 8
; Occupancy: 8
; WaveLimiterHint : 0
; COMPUTE_PGM_RSRC2:SCRATCH_EN: 0
; COMPUTE_PGM_RSRC2:USER_SGPR: 6
; COMPUTE_PGM_RSRC2:TRAP_HANDLER: 0
; COMPUTE_PGM_RSRC2:TGID_X_EN: 1
; COMPUTE_PGM_RSRC2:TGID_Y_EN: 0
; COMPUTE_PGM_RSRC2:TGID_Z_EN: 0
; COMPUTE_PGM_RSRC2:TIDIG_COMP_CNT: 0
; COMPUTE_PGM_RSRC3_GFX90A:ACCUM_OFFSET: 1
; COMPUTE_PGM_RSRC3_GFX90A:TG_SPLIT: 0
	.section	.text._Z18warp_reduce_kernelIfLj60ELj15EENSt9enable_ifIXsr10test_utilsE35device_test_enabled_for_warp_size_vIXT1_EEEvE4typeEPT_S4_,"axG",@progbits,_Z18warp_reduce_kernelIfLj60ELj15EENSt9enable_ifIXsr10test_utilsE35device_test_enabled_for_warp_size_vIXT1_EEEvE4typeEPT_S4_,comdat
	.protected	_Z18warp_reduce_kernelIfLj60ELj15EENSt9enable_ifIXsr10test_utilsE35device_test_enabled_for_warp_size_vIXT1_EEEvE4typeEPT_S4_ ; -- Begin function _Z18warp_reduce_kernelIfLj60ELj15EENSt9enable_ifIXsr10test_utilsE35device_test_enabled_for_warp_size_vIXT1_EEEvE4typeEPT_S4_
	.globl	_Z18warp_reduce_kernelIfLj60ELj15EENSt9enable_ifIXsr10test_utilsE35device_test_enabled_for_warp_size_vIXT1_EEEvE4typeEPT_S4_
	.p2align	8
	.type	_Z18warp_reduce_kernelIfLj60ELj15EENSt9enable_ifIXsr10test_utilsE35device_test_enabled_for_warp_size_vIXT1_EEEvE4typeEPT_S4_,@function
_Z18warp_reduce_kernelIfLj60ELj15EENSt9enable_ifIXsr10test_utilsE35device_test_enabled_for_warp_size_vIXT1_EEEvE4typeEPT_S4_: ; @_Z18warp_reduce_kernelIfLj60ELj15EENSt9enable_ifIXsr10test_utilsE35device_test_enabled_for_warp_size_vIXT1_EEEvE4typeEPT_S4_
; %bb.0:
	s_load_dword s7, s[4:5], 0x1c
	s_load_dwordx4 s[0:3], s[4:5], 0x0
	v_mov_b32_e32 v3, 0
	s_waitcnt lgkmcnt(0)
	s_and_b32 s4, s7, 0xffff
	s_mul_i32 s6, s6, s4
	v_add_u32_e32 v2, s6, v0
	v_lshlrev_b64 v[4:5], 2, v[2:3]
	v_mov_b32_e32 v1, s1
	v_add_co_u32_e32 v4, vcc, s0, v4
	v_addc_co_u32_e32 v5, vcc, v1, v5, vcc
	global_load_dword v1, v[4:5], off
	v_mbcnt_lo_u32_b32 v3, -1, 0
	s_mov_b32 s0, 0x11111112
	v_mul_u32_u24_e32 v4, 0x1112, v0
	v_mbcnt_hi_u32_b32 v5, -1, v3
	v_lshrrev_b32_e32 v3, 16, v4
	v_mul_hi_u32 v4, v5, s0
	v_mul_u32_u24_e32 v4, 15, v4
	v_sub_u32_e32 v5, v5, v4
	v_lshlrev_b32_e32 v4, 2, v5
	v_mad_u32_u24 v4, v3, 60, v4
	v_cmp_gt_u32_e32 vcc, 7, v5
	s_waitcnt vmcnt(0)
	ds_write_b32 v4, v1
	; wave barrier
	s_and_saveexec_b64 s[0:1], vcc
	s_cbranch_execz .LBB5_2
; %bb.1:
	ds_read2_b32 v[6:7], v4 offset1:8
	s_waitcnt lgkmcnt(0)
	v_add_f32_e32 v1, v6, v7
.LBB5_2:
	s_or_b64 exec, exec, s[0:1]
	; wave barrier
	s_and_saveexec_b64 s[0:1], vcc
	s_cbranch_execz .LBB5_4
; %bb.3:
	ds_write_b32 v4, v1
.LBB5_4:
	s_or_b64 exec, exec, s[0:1]
	v_cmp_gt_u32_e32 vcc, 4, v5
	; wave barrier
	s_and_saveexec_b64 s[0:1], vcc
	s_cbranch_execz .LBB5_6
; %bb.5:
	ds_read2_b32 v[6:7], v4 offset1:4
	s_waitcnt lgkmcnt(0)
	v_add_f32_e32 v1, v6, v7
.LBB5_6:
	s_or_b64 exec, exec, s[0:1]
	; wave barrier
	s_and_saveexec_b64 s[0:1], vcc
	s_cbranch_execz .LBB5_8
; %bb.7:
	ds_write_b32 v4, v1
.LBB5_8:
	s_or_b64 exec, exec, s[0:1]
	v_cmp_gt_u32_e32 vcc, 2, v5
	; wave barrier
	s_and_saveexec_b64 s[0:1], vcc
	s_cbranch_execz .LBB5_10
; %bb.9:
	ds_read2_b32 v[6:7], v4 offset1:2
	s_waitcnt lgkmcnt(0)
	v_add_f32_e32 v1, v6, v7
.LBB5_10:
	s_or_b64 exec, exec, s[0:1]
	; wave barrier
	s_and_saveexec_b64 s[0:1], vcc
	s_cbranch_execz .LBB5_12
; %bb.11:
	ds_write_b32 v4, v1
.LBB5_12:
	s_or_b64 exec, exec, s[0:1]
	v_cmp_eq_u32_e32 vcc, 0, v5
	; wave barrier
	s_and_saveexec_b64 s[0:1], vcc
	s_cbranch_execz .LBB5_14
; %bb.13:
	v_mul_u32_u24_e32 v1, 60, v3
	ds_read_b32 v5, v4
	ds_read_b32 v1, v1 offset:4
	s_waitcnt lgkmcnt(0)
	v_add_f32_e32 v1, v5, v1
.LBB5_14:
	s_or_b64 exec, exec, s[0:1]
	; wave barrier
	s_and_saveexec_b64 s[0:1], vcc
	s_cbranch_execz .LBB5_16
; %bb.15:
	ds_write_b32 v4, v1
.LBB5_16:
	s_or_b64 exec, exec, s[0:1]
	v_mul_lo_u16_e32 v3, 15, v3
	v_sub_u16_e32 v0, v0, v3
	v_cmp_eq_u16_e32 vcc, 0, v0
	; wave barrier
	s_and_saveexec_b64 s[0:1], vcc
	s_cbranch_execz .LBB5_18
; %bb.17:
	s_mov_b32 s0, 0x88888889
	v_mul_hi_u32 v0, v2, s0
	v_lshrrev_b32_e32 v0, 1, v0
	v_and_b32_e32 v0, 0x7ffffffc, v0
	global_store_dword v0, v1, s[2:3]
.LBB5_18:
	s_endpgm
	.section	.rodata,"a",@progbits
	.p2align	6, 0x0
	.amdhsa_kernel _Z18warp_reduce_kernelIfLj60ELj15EENSt9enable_ifIXsr10test_utilsE35device_test_enabled_for_warp_size_vIXT1_EEEvE4typeEPT_S4_
		.amdhsa_group_segment_fixed_size 240
		.amdhsa_private_segment_fixed_size 0
		.amdhsa_kernarg_size 272
		.amdhsa_user_sgpr_count 6
		.amdhsa_user_sgpr_private_segment_buffer 1
		.amdhsa_user_sgpr_dispatch_ptr 0
		.amdhsa_user_sgpr_queue_ptr 0
		.amdhsa_user_sgpr_kernarg_segment_ptr 1
		.amdhsa_user_sgpr_dispatch_id 0
		.amdhsa_user_sgpr_flat_scratch_init 0
		.amdhsa_user_sgpr_kernarg_preload_length 0
		.amdhsa_user_sgpr_kernarg_preload_offset 0
		.amdhsa_user_sgpr_private_segment_size 0
		.amdhsa_uses_dynamic_stack 0
		.amdhsa_system_sgpr_private_segment_wavefront_offset 0
		.amdhsa_system_sgpr_workgroup_id_x 1
		.amdhsa_system_sgpr_workgroup_id_y 0
		.amdhsa_system_sgpr_workgroup_id_z 0
		.amdhsa_system_sgpr_workgroup_info 0
		.amdhsa_system_vgpr_workitem_id 0
		.amdhsa_next_free_vgpr 8
		.amdhsa_next_free_sgpr 8
		.amdhsa_accum_offset 8
		.amdhsa_reserve_vcc 1
		.amdhsa_reserve_flat_scratch 0
		.amdhsa_float_round_mode_32 0
		.amdhsa_float_round_mode_16_64 0
		.amdhsa_float_denorm_mode_32 3
		.amdhsa_float_denorm_mode_16_64 3
		.amdhsa_dx10_clamp 1
		.amdhsa_ieee_mode 1
		.amdhsa_fp16_overflow 0
		.amdhsa_tg_split 0
		.amdhsa_exception_fp_ieee_invalid_op 0
		.amdhsa_exception_fp_denorm_src 0
		.amdhsa_exception_fp_ieee_div_zero 0
		.amdhsa_exception_fp_ieee_overflow 0
		.amdhsa_exception_fp_ieee_underflow 0
		.amdhsa_exception_fp_ieee_inexact 0
		.amdhsa_exception_int_div_zero 0
	.end_amdhsa_kernel
	.section	.text._Z18warp_reduce_kernelIfLj60ELj15EENSt9enable_ifIXsr10test_utilsE35device_test_enabled_for_warp_size_vIXT1_EEEvE4typeEPT_S4_,"axG",@progbits,_Z18warp_reduce_kernelIfLj60ELj15EENSt9enable_ifIXsr10test_utilsE35device_test_enabled_for_warp_size_vIXT1_EEEvE4typeEPT_S4_,comdat
.Lfunc_end5:
	.size	_Z18warp_reduce_kernelIfLj60ELj15EENSt9enable_ifIXsr10test_utilsE35device_test_enabled_for_warp_size_vIXT1_EEEvE4typeEPT_S4_, .Lfunc_end5-_Z18warp_reduce_kernelIfLj60ELj15EENSt9enable_ifIXsr10test_utilsE35device_test_enabled_for_warp_size_vIXT1_EEEvE4typeEPT_S4_
                                        ; -- End function
	.section	.AMDGPU.csdata,"",@progbits
; Kernel info:
; codeLenInByte = 424
; NumSgprs: 12
; NumVgprs: 8
; NumAgprs: 0
; TotalNumVgprs: 8
; ScratchSize: 0
; MemoryBound: 0
; FloatMode: 240
; IeeeMode: 1
; LDSByteSize: 240 bytes/workgroup (compile time only)
; SGPRBlocks: 1
; VGPRBlocks: 0
; NumSGPRsForWavesPerEU: 12
; NumVGPRsForWavesPerEU: 8
; AccumOffset: 8
; Occupancy: 8
; WaveLimiterHint : 0
; COMPUTE_PGM_RSRC2:SCRATCH_EN: 0
; COMPUTE_PGM_RSRC2:USER_SGPR: 6
; COMPUTE_PGM_RSRC2:TRAP_HANDLER: 0
; COMPUTE_PGM_RSRC2:TGID_X_EN: 1
; COMPUTE_PGM_RSRC2:TGID_Y_EN: 0
; COMPUTE_PGM_RSRC2:TGID_Z_EN: 0
; COMPUTE_PGM_RSRC2:TIDIG_COMP_CNT: 0
; COMPUTE_PGM_RSRC3_GFX90A:ACCUM_OFFSET: 1
; COMPUTE_PGM_RSRC3_GFX90A:TG_SPLIT: 0
	.section	.text._Z18warp_reduce_kernelIfLj28ELj7EENSt9enable_ifIXsr10test_utilsE35device_test_enabled_for_warp_size_vIXT1_EEEvE4typeEPT_S4_,"axG",@progbits,_Z18warp_reduce_kernelIfLj28ELj7EENSt9enable_ifIXsr10test_utilsE35device_test_enabled_for_warp_size_vIXT1_EEEvE4typeEPT_S4_,comdat
	.protected	_Z18warp_reduce_kernelIfLj28ELj7EENSt9enable_ifIXsr10test_utilsE35device_test_enabled_for_warp_size_vIXT1_EEEvE4typeEPT_S4_ ; -- Begin function _Z18warp_reduce_kernelIfLj28ELj7EENSt9enable_ifIXsr10test_utilsE35device_test_enabled_for_warp_size_vIXT1_EEEvE4typeEPT_S4_
	.globl	_Z18warp_reduce_kernelIfLj28ELj7EENSt9enable_ifIXsr10test_utilsE35device_test_enabled_for_warp_size_vIXT1_EEEvE4typeEPT_S4_
	.p2align	8
	.type	_Z18warp_reduce_kernelIfLj28ELj7EENSt9enable_ifIXsr10test_utilsE35device_test_enabled_for_warp_size_vIXT1_EEEvE4typeEPT_S4_,@function
_Z18warp_reduce_kernelIfLj28ELj7EENSt9enable_ifIXsr10test_utilsE35device_test_enabled_for_warp_size_vIXT1_EEEvE4typeEPT_S4_: ; @_Z18warp_reduce_kernelIfLj28ELj7EENSt9enable_ifIXsr10test_utilsE35device_test_enabled_for_warp_size_vIXT1_EEEvE4typeEPT_S4_
; %bb.0:
	s_load_dword s7, s[4:5], 0x1c
	s_load_dwordx4 s[0:3], s[4:5], 0x0
	v_mov_b32_e32 v3, 0
	s_waitcnt lgkmcnt(0)
	s_and_b32 s4, s7, 0xffff
	s_mul_i32 s6, s6, s4
	v_add_u32_e32 v2, s6, v0
	v_lshlrev_b64 v[4:5], 2, v[2:3]
	v_mov_b32_e32 v1, s1
	v_add_co_u32_e32 v4, vcc, s0, v4
	v_addc_co_u32_e32 v5, vcc, v1, v5, vcc
	global_load_dword v1, v[4:5], off
	v_mbcnt_lo_u32_b32 v3, -1, 0
	s_mov_b32 s0, 0x24924925
	v_mul_u32_u24_e32 v4, 0x2493, v0
	v_mbcnt_hi_u32_b32 v5, -1, v3
	v_lshrrev_b32_e32 v3, 16, v4
	v_mul_hi_u32 v4, v5, s0
	v_mul_u32_u24_e32 v4, 7, v4
	v_sub_u32_e32 v5, v5, v4
	v_lshlrev_b32_e32 v4, 2, v5
	v_mad_u32_u24 v4, v3, 28, v4
	v_cmp_gt_u32_e32 vcc, 3, v5
	s_waitcnt vmcnt(0)
	ds_write_b32 v4, v1
	; wave barrier
	s_and_saveexec_b64 s[0:1], vcc
	s_cbranch_execz .LBB6_2
; %bb.1:
	ds_read2_b32 v[6:7], v4 offset1:4
	s_waitcnt lgkmcnt(0)
	v_add_f32_e32 v1, v6, v7
.LBB6_2:
	s_or_b64 exec, exec, s[0:1]
	; wave barrier
	s_and_saveexec_b64 s[0:1], vcc
	s_cbranch_execz .LBB6_4
; %bb.3:
	ds_write_b32 v4, v1
.LBB6_4:
	s_or_b64 exec, exec, s[0:1]
	v_cmp_gt_u32_e32 vcc, 2, v5
	; wave barrier
	s_and_saveexec_b64 s[0:1], vcc
	s_cbranch_execz .LBB6_6
; %bb.5:
	ds_read2_b32 v[6:7], v4 offset1:2
	s_waitcnt lgkmcnt(0)
	v_add_f32_e32 v1, v6, v7
.LBB6_6:
	s_or_b64 exec, exec, s[0:1]
	; wave barrier
	s_and_saveexec_b64 s[0:1], vcc
	s_cbranch_execz .LBB6_8
; %bb.7:
	ds_write_b32 v4, v1
.LBB6_8:
	s_or_b64 exec, exec, s[0:1]
	v_cmp_eq_u32_e32 vcc, 0, v5
	; wave barrier
	s_and_saveexec_b64 s[0:1], vcc
	s_cbranch_execz .LBB6_10
; %bb.9:
	v_mul_u32_u24_e32 v1, 28, v3
	ds_read_b32 v5, v4
	ds_read_b32 v1, v1 offset:4
	s_waitcnt lgkmcnt(0)
	v_add_f32_e32 v1, v5, v1
.LBB6_10:
	s_or_b64 exec, exec, s[0:1]
	; wave barrier
	s_and_saveexec_b64 s[0:1], vcc
	s_cbranch_execz .LBB6_12
; %bb.11:
	ds_write_b32 v4, v1
.LBB6_12:
	s_or_b64 exec, exec, s[0:1]
	v_mul_lo_u16_e32 v3, 7, v3
	v_sub_u16_e32 v0, v0, v3
	v_cmp_eq_u16_e32 vcc, 0, v0
	; wave barrier
	s_and_saveexec_b64 s[0:1], vcc
	s_cbranch_execz .LBB6_14
; %bb.13:
	s_mov_b32 s0, 0x24924925
	v_mul_hi_u32 v0, v2, s0
	v_sub_u32_e32 v2, v2, v0
	v_lshrrev_b32_e32 v2, 1, v2
	v_add_u32_e32 v0, v2, v0
	v_and_b32_e32 v0, -4, v0
	global_store_dword v0, v1, s[2:3]
.LBB6_14:
	s_endpgm
	.section	.rodata,"a",@progbits
	.p2align	6, 0x0
	.amdhsa_kernel _Z18warp_reduce_kernelIfLj28ELj7EENSt9enable_ifIXsr10test_utilsE35device_test_enabled_for_warp_size_vIXT1_EEEvE4typeEPT_S4_
		.amdhsa_group_segment_fixed_size 112
		.amdhsa_private_segment_fixed_size 0
		.amdhsa_kernarg_size 272
		.amdhsa_user_sgpr_count 6
		.amdhsa_user_sgpr_private_segment_buffer 1
		.amdhsa_user_sgpr_dispatch_ptr 0
		.amdhsa_user_sgpr_queue_ptr 0
		.amdhsa_user_sgpr_kernarg_segment_ptr 1
		.amdhsa_user_sgpr_dispatch_id 0
		.amdhsa_user_sgpr_flat_scratch_init 0
		.amdhsa_user_sgpr_kernarg_preload_length 0
		.amdhsa_user_sgpr_kernarg_preload_offset 0
		.amdhsa_user_sgpr_private_segment_size 0
		.amdhsa_uses_dynamic_stack 0
		.amdhsa_system_sgpr_private_segment_wavefront_offset 0
		.amdhsa_system_sgpr_workgroup_id_x 1
		.amdhsa_system_sgpr_workgroup_id_y 0
		.amdhsa_system_sgpr_workgroup_id_z 0
		.amdhsa_system_sgpr_workgroup_info 0
		.amdhsa_system_vgpr_workitem_id 0
		.amdhsa_next_free_vgpr 8
		.amdhsa_next_free_sgpr 8
		.amdhsa_accum_offset 8
		.amdhsa_reserve_vcc 1
		.amdhsa_reserve_flat_scratch 0
		.amdhsa_float_round_mode_32 0
		.amdhsa_float_round_mode_16_64 0
		.amdhsa_float_denorm_mode_32 3
		.amdhsa_float_denorm_mode_16_64 3
		.amdhsa_dx10_clamp 1
		.amdhsa_ieee_mode 1
		.amdhsa_fp16_overflow 0
		.amdhsa_tg_split 0
		.amdhsa_exception_fp_ieee_invalid_op 0
		.amdhsa_exception_fp_denorm_src 0
		.amdhsa_exception_fp_ieee_div_zero 0
		.amdhsa_exception_fp_ieee_overflow 0
		.amdhsa_exception_fp_ieee_underflow 0
		.amdhsa_exception_fp_ieee_inexact 0
		.amdhsa_exception_int_div_zero 0
	.end_amdhsa_kernel
	.section	.text._Z18warp_reduce_kernelIfLj28ELj7EENSt9enable_ifIXsr10test_utilsE35device_test_enabled_for_warp_size_vIXT1_EEEvE4typeEPT_S4_,"axG",@progbits,_Z18warp_reduce_kernelIfLj28ELj7EENSt9enable_ifIXsr10test_utilsE35device_test_enabled_for_warp_size_vIXT1_EEEvE4typeEPT_S4_,comdat
.Lfunc_end6:
	.size	_Z18warp_reduce_kernelIfLj28ELj7EENSt9enable_ifIXsr10test_utilsE35device_test_enabled_for_warp_size_vIXT1_EEEvE4typeEPT_S4_, .Lfunc_end6-_Z18warp_reduce_kernelIfLj28ELj7EENSt9enable_ifIXsr10test_utilsE35device_test_enabled_for_warp_size_vIXT1_EEEvE4typeEPT_S4_
                                        ; -- End function
	.section	.AMDGPU.csdata,"",@progbits
; Kernel info:
; codeLenInByte = 376
; NumSgprs: 12
; NumVgprs: 8
; NumAgprs: 0
; TotalNumVgprs: 8
; ScratchSize: 0
; MemoryBound: 0
; FloatMode: 240
; IeeeMode: 1
; LDSByteSize: 112 bytes/workgroup (compile time only)
; SGPRBlocks: 1
; VGPRBlocks: 0
; NumSGPRsForWavesPerEU: 12
; NumVGPRsForWavesPerEU: 8
; AccumOffset: 8
; Occupancy: 8
; WaveLimiterHint : 0
; COMPUTE_PGM_RSRC2:SCRATCH_EN: 0
; COMPUTE_PGM_RSRC2:USER_SGPR: 6
; COMPUTE_PGM_RSRC2:TRAP_HANDLER: 0
; COMPUTE_PGM_RSRC2:TGID_X_EN: 1
; COMPUTE_PGM_RSRC2:TGID_Y_EN: 0
; COMPUTE_PGM_RSRC2:TGID_Z_EN: 0
; COMPUTE_PGM_RSRC2:TIDIG_COMP_CNT: 0
; COMPUTE_PGM_RSRC3_GFX90A:ACCUM_OFFSET: 1
; COMPUTE_PGM_RSRC3_GFX90A:TG_SPLIT: 0
	.section	.text._Z18warp_reduce_kernelIfLj63ELj7EENSt9enable_ifIXsr10test_utilsE35device_test_enabled_for_warp_size_vIXT1_EEEvE4typeEPT_S4_,"axG",@progbits,_Z18warp_reduce_kernelIfLj63ELj7EENSt9enable_ifIXsr10test_utilsE35device_test_enabled_for_warp_size_vIXT1_EEEvE4typeEPT_S4_,comdat
	.protected	_Z18warp_reduce_kernelIfLj63ELj7EENSt9enable_ifIXsr10test_utilsE35device_test_enabled_for_warp_size_vIXT1_EEEvE4typeEPT_S4_ ; -- Begin function _Z18warp_reduce_kernelIfLj63ELj7EENSt9enable_ifIXsr10test_utilsE35device_test_enabled_for_warp_size_vIXT1_EEEvE4typeEPT_S4_
	.globl	_Z18warp_reduce_kernelIfLj63ELj7EENSt9enable_ifIXsr10test_utilsE35device_test_enabled_for_warp_size_vIXT1_EEEvE4typeEPT_S4_
	.p2align	8
	.type	_Z18warp_reduce_kernelIfLj63ELj7EENSt9enable_ifIXsr10test_utilsE35device_test_enabled_for_warp_size_vIXT1_EEEvE4typeEPT_S4_,@function
_Z18warp_reduce_kernelIfLj63ELj7EENSt9enable_ifIXsr10test_utilsE35device_test_enabled_for_warp_size_vIXT1_EEEvE4typeEPT_S4_: ; @_Z18warp_reduce_kernelIfLj63ELj7EENSt9enable_ifIXsr10test_utilsE35device_test_enabled_for_warp_size_vIXT1_EEEvE4typeEPT_S4_
; %bb.0:
	s_load_dword s7, s[4:5], 0x1c
	s_load_dwordx4 s[0:3], s[4:5], 0x0
	v_mov_b32_e32 v3, 0
	s_waitcnt lgkmcnt(0)
	s_and_b32 s4, s7, 0xffff
	s_mul_i32 s6, s6, s4
	v_add_u32_e32 v2, s6, v0
	v_lshlrev_b64 v[4:5], 2, v[2:3]
	v_mov_b32_e32 v1, s1
	v_add_co_u32_e32 v4, vcc, s0, v4
	v_addc_co_u32_e32 v5, vcc, v1, v5, vcc
	global_load_dword v1, v[4:5], off
	v_mbcnt_lo_u32_b32 v3, -1, 0
	s_mov_b32 s0, 0x24924925
	v_mul_u32_u24_e32 v4, 0x2493, v0
	v_mbcnt_hi_u32_b32 v5, -1, v3
	v_lshrrev_b32_e32 v3, 16, v4
	v_mul_hi_u32 v4, v5, s0
	v_mul_u32_u24_e32 v4, 7, v4
	v_sub_u32_e32 v5, v5, v4
	v_lshlrev_b32_e32 v4, 2, v5
	v_mad_u32_u24 v4, v3, 28, v4
	v_cmp_gt_u32_e32 vcc, 3, v5
	s_waitcnt vmcnt(0)
	ds_write_b32 v4, v1
	; wave barrier
	s_and_saveexec_b64 s[0:1], vcc
	s_cbranch_execz .LBB7_2
; %bb.1:
	ds_read2_b32 v[6:7], v4 offset1:4
	s_waitcnt lgkmcnt(0)
	v_add_f32_e32 v1, v6, v7
.LBB7_2:
	s_or_b64 exec, exec, s[0:1]
	; wave barrier
	s_and_saveexec_b64 s[0:1], vcc
	s_cbranch_execz .LBB7_4
; %bb.3:
	ds_write_b32 v4, v1
.LBB7_4:
	s_or_b64 exec, exec, s[0:1]
	v_cmp_gt_u32_e32 vcc, 2, v5
	; wave barrier
	s_and_saveexec_b64 s[0:1], vcc
	s_cbranch_execz .LBB7_6
; %bb.5:
	ds_read2_b32 v[6:7], v4 offset1:2
	s_waitcnt lgkmcnt(0)
	v_add_f32_e32 v1, v6, v7
.LBB7_6:
	s_or_b64 exec, exec, s[0:1]
	; wave barrier
	s_and_saveexec_b64 s[0:1], vcc
	s_cbranch_execz .LBB7_8
; %bb.7:
	ds_write_b32 v4, v1
.LBB7_8:
	s_or_b64 exec, exec, s[0:1]
	v_cmp_eq_u32_e32 vcc, 0, v5
	; wave barrier
	s_and_saveexec_b64 s[0:1], vcc
	s_cbranch_execz .LBB7_10
; %bb.9:
	v_mul_u32_u24_e32 v1, 28, v3
	ds_read_b32 v5, v4
	ds_read_b32 v1, v1 offset:4
	s_waitcnt lgkmcnt(0)
	v_add_f32_e32 v1, v5, v1
.LBB7_10:
	s_or_b64 exec, exec, s[0:1]
	; wave barrier
	s_and_saveexec_b64 s[0:1], vcc
	s_cbranch_execz .LBB7_12
; %bb.11:
	ds_write_b32 v4, v1
.LBB7_12:
	s_or_b64 exec, exec, s[0:1]
	v_mul_lo_u16_e32 v3, 7, v3
	v_sub_u16_e32 v0, v0, v3
	v_cmp_eq_u16_e32 vcc, 0, v0
	; wave barrier
	s_and_saveexec_b64 s[0:1], vcc
	s_cbranch_execz .LBB7_14
; %bb.13:
	s_mov_b32 s0, 0x24924925
	v_mul_hi_u32 v0, v2, s0
	v_sub_u32_e32 v2, v2, v0
	v_lshrrev_b32_e32 v2, 1, v2
	v_add_u32_e32 v0, v2, v0
	v_and_b32_e32 v0, -4, v0
	global_store_dword v0, v1, s[2:3]
.LBB7_14:
	s_endpgm
	.section	.rodata,"a",@progbits
	.p2align	6, 0x0
	.amdhsa_kernel _Z18warp_reduce_kernelIfLj63ELj7EENSt9enable_ifIXsr10test_utilsE35device_test_enabled_for_warp_size_vIXT1_EEEvE4typeEPT_S4_
		.amdhsa_group_segment_fixed_size 252
		.amdhsa_private_segment_fixed_size 0
		.amdhsa_kernarg_size 272
		.amdhsa_user_sgpr_count 6
		.amdhsa_user_sgpr_private_segment_buffer 1
		.amdhsa_user_sgpr_dispatch_ptr 0
		.amdhsa_user_sgpr_queue_ptr 0
		.amdhsa_user_sgpr_kernarg_segment_ptr 1
		.amdhsa_user_sgpr_dispatch_id 0
		.amdhsa_user_sgpr_flat_scratch_init 0
		.amdhsa_user_sgpr_kernarg_preload_length 0
		.amdhsa_user_sgpr_kernarg_preload_offset 0
		.amdhsa_user_sgpr_private_segment_size 0
		.amdhsa_uses_dynamic_stack 0
		.amdhsa_system_sgpr_private_segment_wavefront_offset 0
		.amdhsa_system_sgpr_workgroup_id_x 1
		.amdhsa_system_sgpr_workgroup_id_y 0
		.amdhsa_system_sgpr_workgroup_id_z 0
		.amdhsa_system_sgpr_workgroup_info 0
		.amdhsa_system_vgpr_workitem_id 0
		.amdhsa_next_free_vgpr 8
		.amdhsa_next_free_sgpr 8
		.amdhsa_accum_offset 8
		.amdhsa_reserve_vcc 1
		.amdhsa_reserve_flat_scratch 0
		.amdhsa_float_round_mode_32 0
		.amdhsa_float_round_mode_16_64 0
		.amdhsa_float_denorm_mode_32 3
		.amdhsa_float_denorm_mode_16_64 3
		.amdhsa_dx10_clamp 1
		.amdhsa_ieee_mode 1
		.amdhsa_fp16_overflow 0
		.amdhsa_tg_split 0
		.amdhsa_exception_fp_ieee_invalid_op 0
		.amdhsa_exception_fp_denorm_src 0
		.amdhsa_exception_fp_ieee_div_zero 0
		.amdhsa_exception_fp_ieee_overflow 0
		.amdhsa_exception_fp_ieee_underflow 0
		.amdhsa_exception_fp_ieee_inexact 0
		.amdhsa_exception_int_div_zero 0
	.end_amdhsa_kernel
	.section	.text._Z18warp_reduce_kernelIfLj63ELj7EENSt9enable_ifIXsr10test_utilsE35device_test_enabled_for_warp_size_vIXT1_EEEvE4typeEPT_S4_,"axG",@progbits,_Z18warp_reduce_kernelIfLj63ELj7EENSt9enable_ifIXsr10test_utilsE35device_test_enabled_for_warp_size_vIXT1_EEEvE4typeEPT_S4_,comdat
.Lfunc_end7:
	.size	_Z18warp_reduce_kernelIfLj63ELj7EENSt9enable_ifIXsr10test_utilsE35device_test_enabled_for_warp_size_vIXT1_EEEvE4typeEPT_S4_, .Lfunc_end7-_Z18warp_reduce_kernelIfLj63ELj7EENSt9enable_ifIXsr10test_utilsE35device_test_enabled_for_warp_size_vIXT1_EEEvE4typeEPT_S4_
                                        ; -- End function
	.section	.AMDGPU.csdata,"",@progbits
; Kernel info:
; codeLenInByte = 376
; NumSgprs: 12
; NumVgprs: 8
; NumAgprs: 0
; TotalNumVgprs: 8
; ScratchSize: 0
; MemoryBound: 0
; FloatMode: 240
; IeeeMode: 1
; LDSByteSize: 252 bytes/workgroup (compile time only)
; SGPRBlocks: 1
; VGPRBlocks: 0
; NumSGPRsForWavesPerEU: 12
; NumVGPRsForWavesPerEU: 8
; AccumOffset: 8
; Occupancy: 8
; WaveLimiterHint : 0
; COMPUTE_PGM_RSRC2:SCRATCH_EN: 0
; COMPUTE_PGM_RSRC2:USER_SGPR: 6
; COMPUTE_PGM_RSRC2:TRAP_HANDLER: 0
; COMPUTE_PGM_RSRC2:TGID_X_EN: 1
; COMPUTE_PGM_RSRC2:TGID_Y_EN: 0
; COMPUTE_PGM_RSRC2:TGID_Z_EN: 0
; COMPUTE_PGM_RSRC2:TIDIG_COMP_CNT: 0
; COMPUTE_PGM_RSRC3_GFX90A:ACCUM_OFFSET: 1
; COMPUTE_PGM_RSRC3_GFX90A:TG_SPLIT: 0
	.section	.text._Z18warp_reduce_kernelIfLj30ELj3EENSt9enable_ifIXsr10test_utilsE35device_test_enabled_for_warp_size_vIXT1_EEEvE4typeEPT_S4_,"axG",@progbits,_Z18warp_reduce_kernelIfLj30ELj3EENSt9enable_ifIXsr10test_utilsE35device_test_enabled_for_warp_size_vIXT1_EEEvE4typeEPT_S4_,comdat
	.protected	_Z18warp_reduce_kernelIfLj30ELj3EENSt9enable_ifIXsr10test_utilsE35device_test_enabled_for_warp_size_vIXT1_EEEvE4typeEPT_S4_ ; -- Begin function _Z18warp_reduce_kernelIfLj30ELj3EENSt9enable_ifIXsr10test_utilsE35device_test_enabled_for_warp_size_vIXT1_EEEvE4typeEPT_S4_
	.globl	_Z18warp_reduce_kernelIfLj30ELj3EENSt9enable_ifIXsr10test_utilsE35device_test_enabled_for_warp_size_vIXT1_EEEvE4typeEPT_S4_
	.p2align	8
	.type	_Z18warp_reduce_kernelIfLj30ELj3EENSt9enable_ifIXsr10test_utilsE35device_test_enabled_for_warp_size_vIXT1_EEEvE4typeEPT_S4_,@function
_Z18warp_reduce_kernelIfLj30ELj3EENSt9enable_ifIXsr10test_utilsE35device_test_enabled_for_warp_size_vIXT1_EEEvE4typeEPT_S4_: ; @_Z18warp_reduce_kernelIfLj30ELj3EENSt9enable_ifIXsr10test_utilsE35device_test_enabled_for_warp_size_vIXT1_EEEvE4typeEPT_S4_
; %bb.0:
	s_load_dword s7, s[4:5], 0x1c
	s_load_dwordx4 s[0:3], s[4:5], 0x0
	v_mov_b32_e32 v3, 0
	s_waitcnt lgkmcnt(0)
	s_and_b32 s4, s7, 0xffff
	s_mul_i32 s6, s6, s4
	v_add_u32_e32 v2, s6, v0
	v_lshlrev_b64 v[4:5], 2, v[2:3]
	v_mov_b32_e32 v1, s1
	v_add_co_u32_e32 v4, vcc, s0, v4
	v_addc_co_u32_e32 v5, vcc, v1, v5, vcc
	global_load_dword v1, v[4:5], off
	v_mbcnt_lo_u32_b32 v3, -1, 0
	s_mov_b32 s0, 0x55555556
	v_mul_u32_u24_e32 v4, 0x5556, v0
	v_mbcnt_hi_u32_b32 v6, -1, v3
	v_lshrrev_b32_e32 v3, 16, v4
	v_mul_hi_u32 v4, v6, s0
	v_mul_u32_u24_e32 v4, 3, v4
	v_sub_u32_e32 v6, v6, v4
	v_lshlrev_b32_e32 v4, 2, v6
	v_mul_u32_u24_e32 v5, 12, v3
	v_mad_u32_u24 v4, v3, 12, v4
	v_cmp_eq_u32_e32 vcc, 0, v6
	s_waitcnt vmcnt(0)
	ds_write_b32 v4, v1
	; wave barrier
	s_and_saveexec_b64 s[0:1], vcc
	s_cbranch_execz .LBB8_2
; %bb.1:
	ds_read_b32 v1, v4
	ds_read_b32 v6, v5 offset:8
	s_waitcnt lgkmcnt(0)
	v_add_f32_e32 v1, v1, v6
.LBB8_2:
	s_or_b64 exec, exec, s[0:1]
	; wave barrier
	s_and_saveexec_b64 s[0:1], vcc
	s_cbranch_execz .LBB8_4
; %bb.3:
	ds_write_b32 v4, v1
.LBB8_4:
	s_or_b64 exec, exec, s[0:1]
	; wave barrier
	s_and_saveexec_b64 s[0:1], vcc
	s_cbranch_execz .LBB8_6
; %bb.5:
	ds_read_b32 v1, v4
	ds_read_b32 v5, v5 offset:4
	s_waitcnt lgkmcnt(0)
	v_add_f32_e32 v1, v1, v5
.LBB8_6:
	s_or_b64 exec, exec, s[0:1]
	; wave barrier
	s_and_saveexec_b64 s[0:1], vcc
	s_cbranch_execz .LBB8_8
; %bb.7:
	ds_write_b32 v4, v1
.LBB8_8:
	s_or_b64 exec, exec, s[0:1]
	v_mul_lo_u16_e32 v3, 3, v3
	v_sub_u16_e32 v0, v0, v3
	v_cmp_eq_u16_e32 vcc, 0, v0
	; wave barrier
	s_and_saveexec_b64 s[0:1], vcc
	s_cbranch_execz .LBB8_10
; %bb.9:
	s_mov_b32 s0, 0xaaaaaaab
	v_mul_hi_u32 v0, v2, s0
	v_lshrrev_b32_e32 v2, 1, v0
	v_mov_b32_e32 v3, 0
	v_lshlrev_b64 v[2:3], 2, v[2:3]
	v_mov_b32_e32 v0, s3
	v_add_co_u32_e32 v2, vcc, s2, v2
	v_addc_co_u32_e32 v3, vcc, v0, v3, vcc
	global_store_dword v[2:3], v1, off
.LBB8_10:
	s_endpgm
	.section	.rodata,"a",@progbits
	.p2align	6, 0x0
	.amdhsa_kernel _Z18warp_reduce_kernelIfLj30ELj3EENSt9enable_ifIXsr10test_utilsE35device_test_enabled_for_warp_size_vIXT1_EEEvE4typeEPT_S4_
		.amdhsa_group_segment_fixed_size 120
		.amdhsa_private_segment_fixed_size 0
		.amdhsa_kernarg_size 272
		.amdhsa_user_sgpr_count 6
		.amdhsa_user_sgpr_private_segment_buffer 1
		.amdhsa_user_sgpr_dispatch_ptr 0
		.amdhsa_user_sgpr_queue_ptr 0
		.amdhsa_user_sgpr_kernarg_segment_ptr 1
		.amdhsa_user_sgpr_dispatch_id 0
		.amdhsa_user_sgpr_flat_scratch_init 0
		.amdhsa_user_sgpr_kernarg_preload_length 0
		.amdhsa_user_sgpr_kernarg_preload_offset 0
		.amdhsa_user_sgpr_private_segment_size 0
		.amdhsa_uses_dynamic_stack 0
		.amdhsa_system_sgpr_private_segment_wavefront_offset 0
		.amdhsa_system_sgpr_workgroup_id_x 1
		.amdhsa_system_sgpr_workgroup_id_y 0
		.amdhsa_system_sgpr_workgroup_id_z 0
		.amdhsa_system_sgpr_workgroup_info 0
		.amdhsa_system_vgpr_workitem_id 0
		.amdhsa_next_free_vgpr 7
		.amdhsa_next_free_sgpr 8
		.amdhsa_accum_offset 8
		.amdhsa_reserve_vcc 1
		.amdhsa_reserve_flat_scratch 0
		.amdhsa_float_round_mode_32 0
		.amdhsa_float_round_mode_16_64 0
		.amdhsa_float_denorm_mode_32 3
		.amdhsa_float_denorm_mode_16_64 3
		.amdhsa_dx10_clamp 1
		.amdhsa_ieee_mode 1
		.amdhsa_fp16_overflow 0
		.amdhsa_tg_split 0
		.amdhsa_exception_fp_ieee_invalid_op 0
		.amdhsa_exception_fp_denorm_src 0
		.amdhsa_exception_fp_ieee_div_zero 0
		.amdhsa_exception_fp_ieee_overflow 0
		.amdhsa_exception_fp_ieee_underflow 0
		.amdhsa_exception_fp_ieee_inexact 0
		.amdhsa_exception_int_div_zero 0
	.end_amdhsa_kernel
	.section	.text._Z18warp_reduce_kernelIfLj30ELj3EENSt9enable_ifIXsr10test_utilsE35device_test_enabled_for_warp_size_vIXT1_EEEvE4typeEPT_S4_,"axG",@progbits,_Z18warp_reduce_kernelIfLj30ELj3EENSt9enable_ifIXsr10test_utilsE35device_test_enabled_for_warp_size_vIXT1_EEEvE4typeEPT_S4_,comdat
.Lfunc_end8:
	.size	_Z18warp_reduce_kernelIfLj30ELj3EENSt9enable_ifIXsr10test_utilsE35device_test_enabled_for_warp_size_vIXT1_EEEvE4typeEPT_S4_, .Lfunc_end8-_Z18warp_reduce_kernelIfLj30ELj3EENSt9enable_ifIXsr10test_utilsE35device_test_enabled_for_warp_size_vIXT1_EEEvE4typeEPT_S4_
                                        ; -- End function
	.section	.AMDGPU.csdata,"",@progbits
; Kernel info:
; codeLenInByte = 340
; NumSgprs: 12
; NumVgprs: 7
; NumAgprs: 0
; TotalNumVgprs: 7
; ScratchSize: 0
; MemoryBound: 0
; FloatMode: 240
; IeeeMode: 1
; LDSByteSize: 120 bytes/workgroup (compile time only)
; SGPRBlocks: 1
; VGPRBlocks: 0
; NumSGPRsForWavesPerEU: 12
; NumVGPRsForWavesPerEU: 7
; AccumOffset: 8
; Occupancy: 8
; WaveLimiterHint : 0
; COMPUTE_PGM_RSRC2:SCRATCH_EN: 0
; COMPUTE_PGM_RSRC2:USER_SGPR: 6
; COMPUTE_PGM_RSRC2:TRAP_HANDLER: 0
; COMPUTE_PGM_RSRC2:TGID_X_EN: 1
; COMPUTE_PGM_RSRC2:TGID_Y_EN: 0
; COMPUTE_PGM_RSRC2:TGID_Z_EN: 0
; COMPUTE_PGM_RSRC2:TIDIG_COMP_CNT: 0
; COMPUTE_PGM_RSRC3_GFX90A:ACCUM_OFFSET: 1
; COMPUTE_PGM_RSRC3_GFX90A:TG_SPLIT: 0
	.section	.text._Z18warp_reduce_kernelIfLj63ELj3EENSt9enable_ifIXsr10test_utilsE35device_test_enabled_for_warp_size_vIXT1_EEEvE4typeEPT_S4_,"axG",@progbits,_Z18warp_reduce_kernelIfLj63ELj3EENSt9enable_ifIXsr10test_utilsE35device_test_enabled_for_warp_size_vIXT1_EEEvE4typeEPT_S4_,comdat
	.protected	_Z18warp_reduce_kernelIfLj63ELj3EENSt9enable_ifIXsr10test_utilsE35device_test_enabled_for_warp_size_vIXT1_EEEvE4typeEPT_S4_ ; -- Begin function _Z18warp_reduce_kernelIfLj63ELj3EENSt9enable_ifIXsr10test_utilsE35device_test_enabled_for_warp_size_vIXT1_EEEvE4typeEPT_S4_
	.globl	_Z18warp_reduce_kernelIfLj63ELj3EENSt9enable_ifIXsr10test_utilsE35device_test_enabled_for_warp_size_vIXT1_EEEvE4typeEPT_S4_
	.p2align	8
	.type	_Z18warp_reduce_kernelIfLj63ELj3EENSt9enable_ifIXsr10test_utilsE35device_test_enabled_for_warp_size_vIXT1_EEEvE4typeEPT_S4_,@function
_Z18warp_reduce_kernelIfLj63ELj3EENSt9enable_ifIXsr10test_utilsE35device_test_enabled_for_warp_size_vIXT1_EEEvE4typeEPT_S4_: ; @_Z18warp_reduce_kernelIfLj63ELj3EENSt9enable_ifIXsr10test_utilsE35device_test_enabled_for_warp_size_vIXT1_EEEvE4typeEPT_S4_
; %bb.0:
	s_load_dword s7, s[4:5], 0x1c
	s_load_dwordx4 s[0:3], s[4:5], 0x0
	v_mov_b32_e32 v3, 0
	s_waitcnt lgkmcnt(0)
	s_and_b32 s4, s7, 0xffff
	s_mul_i32 s6, s6, s4
	v_add_u32_e32 v2, s6, v0
	v_lshlrev_b64 v[4:5], 2, v[2:3]
	v_mov_b32_e32 v1, s1
	v_add_co_u32_e32 v4, vcc, s0, v4
	v_addc_co_u32_e32 v5, vcc, v1, v5, vcc
	global_load_dword v1, v[4:5], off
	v_mbcnt_lo_u32_b32 v3, -1, 0
	s_mov_b32 s0, 0x55555556
	v_mul_u32_u24_e32 v4, 0x5556, v0
	v_mbcnt_hi_u32_b32 v6, -1, v3
	v_lshrrev_b32_e32 v3, 16, v4
	v_mul_hi_u32 v4, v6, s0
	v_mul_u32_u24_e32 v4, 3, v4
	v_sub_u32_e32 v6, v6, v4
	v_lshlrev_b32_e32 v4, 2, v6
	v_mul_u32_u24_e32 v5, 12, v3
	v_mad_u32_u24 v4, v3, 12, v4
	v_cmp_eq_u32_e32 vcc, 0, v6
	s_waitcnt vmcnt(0)
	ds_write_b32 v4, v1
	; wave barrier
	s_and_saveexec_b64 s[0:1], vcc
	s_cbranch_execz .LBB9_2
; %bb.1:
	ds_read_b32 v1, v4
	ds_read_b32 v6, v5 offset:8
	s_waitcnt lgkmcnt(0)
	v_add_f32_e32 v1, v1, v6
.LBB9_2:
	s_or_b64 exec, exec, s[0:1]
	; wave barrier
	s_and_saveexec_b64 s[0:1], vcc
	s_cbranch_execz .LBB9_4
; %bb.3:
	ds_write_b32 v4, v1
.LBB9_4:
	s_or_b64 exec, exec, s[0:1]
	; wave barrier
	s_and_saveexec_b64 s[0:1], vcc
	s_cbranch_execz .LBB9_6
; %bb.5:
	ds_read_b32 v1, v4
	ds_read_b32 v5, v5 offset:4
	s_waitcnt lgkmcnt(0)
	v_add_f32_e32 v1, v1, v5
.LBB9_6:
	s_or_b64 exec, exec, s[0:1]
	; wave barrier
	s_and_saveexec_b64 s[0:1], vcc
	s_cbranch_execz .LBB9_8
; %bb.7:
	ds_write_b32 v4, v1
.LBB9_8:
	s_or_b64 exec, exec, s[0:1]
	v_mul_lo_u16_e32 v3, 3, v3
	v_sub_u16_e32 v0, v0, v3
	v_cmp_eq_u16_e32 vcc, 0, v0
	; wave barrier
	s_and_saveexec_b64 s[0:1], vcc
	s_cbranch_execz .LBB9_10
; %bb.9:
	s_mov_b32 s0, 0xaaaaaaab
	v_mul_hi_u32 v0, v2, s0
	v_lshrrev_b32_e32 v2, 1, v0
	v_mov_b32_e32 v3, 0
	v_lshlrev_b64 v[2:3], 2, v[2:3]
	v_mov_b32_e32 v0, s3
	v_add_co_u32_e32 v2, vcc, s2, v2
	v_addc_co_u32_e32 v3, vcc, v0, v3, vcc
	global_store_dword v[2:3], v1, off
.LBB9_10:
	s_endpgm
	.section	.rodata,"a",@progbits
	.p2align	6, 0x0
	.amdhsa_kernel _Z18warp_reduce_kernelIfLj63ELj3EENSt9enable_ifIXsr10test_utilsE35device_test_enabled_for_warp_size_vIXT1_EEEvE4typeEPT_S4_
		.amdhsa_group_segment_fixed_size 252
		.amdhsa_private_segment_fixed_size 0
		.amdhsa_kernarg_size 272
		.amdhsa_user_sgpr_count 6
		.amdhsa_user_sgpr_private_segment_buffer 1
		.amdhsa_user_sgpr_dispatch_ptr 0
		.amdhsa_user_sgpr_queue_ptr 0
		.amdhsa_user_sgpr_kernarg_segment_ptr 1
		.amdhsa_user_sgpr_dispatch_id 0
		.amdhsa_user_sgpr_flat_scratch_init 0
		.amdhsa_user_sgpr_kernarg_preload_length 0
		.amdhsa_user_sgpr_kernarg_preload_offset 0
		.amdhsa_user_sgpr_private_segment_size 0
		.amdhsa_uses_dynamic_stack 0
		.amdhsa_system_sgpr_private_segment_wavefront_offset 0
		.amdhsa_system_sgpr_workgroup_id_x 1
		.amdhsa_system_sgpr_workgroup_id_y 0
		.amdhsa_system_sgpr_workgroup_id_z 0
		.amdhsa_system_sgpr_workgroup_info 0
		.amdhsa_system_vgpr_workitem_id 0
		.amdhsa_next_free_vgpr 7
		.amdhsa_next_free_sgpr 8
		.amdhsa_accum_offset 8
		.amdhsa_reserve_vcc 1
		.amdhsa_reserve_flat_scratch 0
		.amdhsa_float_round_mode_32 0
		.amdhsa_float_round_mode_16_64 0
		.amdhsa_float_denorm_mode_32 3
		.amdhsa_float_denorm_mode_16_64 3
		.amdhsa_dx10_clamp 1
		.amdhsa_ieee_mode 1
		.amdhsa_fp16_overflow 0
		.amdhsa_tg_split 0
		.amdhsa_exception_fp_ieee_invalid_op 0
		.amdhsa_exception_fp_denorm_src 0
		.amdhsa_exception_fp_ieee_div_zero 0
		.amdhsa_exception_fp_ieee_overflow 0
		.amdhsa_exception_fp_ieee_underflow 0
		.amdhsa_exception_fp_ieee_inexact 0
		.amdhsa_exception_int_div_zero 0
	.end_amdhsa_kernel
	.section	.text._Z18warp_reduce_kernelIfLj63ELj3EENSt9enable_ifIXsr10test_utilsE35device_test_enabled_for_warp_size_vIXT1_EEEvE4typeEPT_S4_,"axG",@progbits,_Z18warp_reduce_kernelIfLj63ELj3EENSt9enable_ifIXsr10test_utilsE35device_test_enabled_for_warp_size_vIXT1_EEEvE4typeEPT_S4_,comdat
.Lfunc_end9:
	.size	_Z18warp_reduce_kernelIfLj63ELj3EENSt9enable_ifIXsr10test_utilsE35device_test_enabled_for_warp_size_vIXT1_EEEvE4typeEPT_S4_, .Lfunc_end9-_Z18warp_reduce_kernelIfLj63ELj3EENSt9enable_ifIXsr10test_utilsE35device_test_enabled_for_warp_size_vIXT1_EEEvE4typeEPT_S4_
                                        ; -- End function
	.section	.AMDGPU.csdata,"",@progbits
; Kernel info:
; codeLenInByte = 340
; NumSgprs: 12
; NumVgprs: 7
; NumAgprs: 0
; TotalNumVgprs: 7
; ScratchSize: 0
; MemoryBound: 0
; FloatMode: 240
; IeeeMode: 1
; LDSByteSize: 252 bytes/workgroup (compile time only)
; SGPRBlocks: 1
; VGPRBlocks: 0
; NumSGPRsForWavesPerEU: 12
; NumVGPRsForWavesPerEU: 7
; AccumOffset: 8
; Occupancy: 8
; WaveLimiterHint : 0
; COMPUTE_PGM_RSRC2:SCRATCH_EN: 0
; COMPUTE_PGM_RSRC2:USER_SGPR: 6
; COMPUTE_PGM_RSRC2:TRAP_HANDLER: 0
; COMPUTE_PGM_RSRC2:TGID_X_EN: 1
; COMPUTE_PGM_RSRC2:TGID_Y_EN: 0
; COMPUTE_PGM_RSRC2:TGID_Z_EN: 0
; COMPUTE_PGM_RSRC2:TIDIG_COMP_CNT: 0
; COMPUTE_PGM_RSRC3_GFX90A:ACCUM_OFFSET: 1
; COMPUTE_PGM_RSRC3_GFX90A:TG_SPLIT: 0
	.section	.text._Z18warp_reduce_kernelIiLj1ELj61EENSt9enable_ifIXsr10test_utilsE35device_test_enabled_for_warp_size_vIXT1_EEEvE4typeEPT_S4_,"axG",@progbits,_Z18warp_reduce_kernelIiLj1ELj61EENSt9enable_ifIXsr10test_utilsE35device_test_enabled_for_warp_size_vIXT1_EEEvE4typeEPT_S4_,comdat
	.protected	_Z18warp_reduce_kernelIiLj1ELj61EENSt9enable_ifIXsr10test_utilsE35device_test_enabled_for_warp_size_vIXT1_EEEvE4typeEPT_S4_ ; -- Begin function _Z18warp_reduce_kernelIiLj1ELj61EENSt9enable_ifIXsr10test_utilsE35device_test_enabled_for_warp_size_vIXT1_EEEvE4typeEPT_S4_
	.globl	_Z18warp_reduce_kernelIiLj1ELj61EENSt9enable_ifIXsr10test_utilsE35device_test_enabled_for_warp_size_vIXT1_EEEvE4typeEPT_S4_
	.p2align	8
	.type	_Z18warp_reduce_kernelIiLj1ELj61EENSt9enable_ifIXsr10test_utilsE35device_test_enabled_for_warp_size_vIXT1_EEEvE4typeEPT_S4_,@function
_Z18warp_reduce_kernelIiLj1ELj61EENSt9enable_ifIXsr10test_utilsE35device_test_enabled_for_warp_size_vIXT1_EEEvE4typeEPT_S4_: ; @_Z18warp_reduce_kernelIiLj1ELj61EENSt9enable_ifIXsr10test_utilsE35device_test_enabled_for_warp_size_vIXT1_EEEvE4typeEPT_S4_
; %bb.0:
	s_load_dword s7, s[4:5], 0x1c
	s_load_dwordx4 s[0:3], s[4:5], 0x0
	s_mov_b32 s5, 0
	v_mbcnt_lo_u32_b32 v0, -1, 0
	v_mbcnt_hi_u32_b32 v0, -1, v0
	s_waitcnt lgkmcnt(0)
	s_and_b32 s4, s7, 0xffff
	s_mul_i32 s4, s6, s4
	s_lshl_b64 s[6:7], s[4:5], 2
	s_add_u32 s0, s0, s6
	s_addc_u32 s1, s1, s7
	s_load_dword s0, s[0:1], 0x0
	s_mov_b32 s1, 0x4325c54
	v_mul_hi_u32 v1, v0, s1
	v_mul_u32_u24_e32 v1, 61, v1
	v_sub_u32_e32 v1, v0, v1
	v_cmp_lt_u32_e32 vcc, 28, v1
	v_readfirstlane_b32 s5, v1
	v_lshlrev_b32_e32 v0, 2, v1
	s_waitcnt lgkmcnt(0)
	v_mov_b32_e32 v2, s0
	s_and_b64 s[6:7], vcc, exec
	v_cmp_gt_u32_e32 vcc, 29, v1
	ds_write_b32 v0, v2
	; wave barrier
	s_cbranch_scc1 .LBB10_2
; %bb.1:
	ds_read2_b32 v[2:3], v0 offset1:32
	s_waitcnt lgkmcnt(0)
	v_add_u32_e32 v1, v3, v2
	s_branch .LBB10_3
.LBB10_2:
	v_mov_b32_e32 v1, s0
.LBB10_3:
	s_andn2_b64 vcc, exec, vcc
	; wave barrier
	s_cbranch_vccnz .LBB10_5
; %bb.4:
	ds_write_b32 v0, v1
.LBB10_5:
	s_cmp_lt_u32 s5, 16
	s_cselect_b64 s[0:1], -1, 0
	s_cmp_gt_u32 s5, 15
	; wave barrier
	s_cbranch_scc1 .LBB10_7
; %bb.6:
	ds_read2_b32 v[2:3], v0 offset1:16
	s_waitcnt lgkmcnt(0)
	v_add_u32_e32 v1, v3, v2
.LBB10_7:
	s_andn2_b64 vcc, exec, s[0:1]
	; wave barrier
	s_cbranch_vccnz .LBB10_9
; %bb.8:
	ds_write_b32 v0, v1
.LBB10_9:
	s_cmp_lt_u32 s5, 8
	s_cselect_b64 s[0:1], -1, 0
	s_cmp_gt_u32 s5, 7
	; wave barrier
	s_cbranch_scc1 .LBB10_11
; %bb.10:
	ds_read2_b32 v[2:3], v0 offset1:8
	s_waitcnt lgkmcnt(0)
	v_add_u32_e32 v1, v3, v2
.LBB10_11:
	s_andn2_b64 vcc, exec, s[0:1]
	; wave barrier
	s_cbranch_vccnz .LBB10_13
; %bb.12:
	ds_write_b32 v0, v1
.LBB10_13:
	s_cmp_lt_u32 s5, 4
	s_cselect_b64 s[0:1], -1, 0
	s_cmp_gt_u32 s5, 3
	; wave barrier
	s_cbranch_scc1 .LBB10_15
; %bb.14:
	ds_read2_b32 v[2:3], v0 offset1:4
	s_waitcnt lgkmcnt(0)
	v_add_u32_e32 v1, v3, v2
.LBB10_15:
	s_andn2_b64 vcc, exec, s[0:1]
	; wave barrier
	s_cbranch_vccnz .LBB10_17
; %bb.16:
	ds_write_b32 v0, v1
.LBB10_17:
	s_cmp_lt_u32 s5, 2
	s_cselect_b64 s[0:1], -1, 0
	s_cmp_gt_u32 s5, 1
	; wave barrier
	s_cbranch_scc1 .LBB10_19
; %bb.18:
	ds_read2_b32 v[2:3], v0 offset1:2
	s_waitcnt lgkmcnt(0)
	v_add_u32_e32 v1, v3, v2
.LBB10_19:
	s_andn2_b64 vcc, exec, s[0:1]
	; wave barrier
	s_cbranch_vccnz .LBB10_21
; %bb.20:
	ds_write_b32 v0, v1
.LBB10_21:
	s_cmp_eq_u32 s5, 0
	s_cselect_b64 s[0:1], -1, 0
	s_cmp_lg_u32 s5, 0
	; wave barrier
	s_cbranch_scc1 .LBB10_23
; %bb.22:
	v_mov_b32_e32 v1, 0
	ds_read_b32 v2, v0
	ds_read_b32 v1, v1 offset:4
	s_waitcnt lgkmcnt(0)
	v_add_u32_e32 v1, v1, v2
.LBB10_23:
	s_andn2_b64 vcc, exec, s[0:1]
	; wave barrier
	s_cbranch_vccnz .LBB10_25
; %bb.24:
	ds_write_b32 v0, v1
.LBB10_25:
	; wave barrier
	s_branch .LBB10_27
; %bb.26:
	s_endpgm
.LBB10_27:
	s_mul_hi_u32 s0, s4, 0x4325c53f
	s_lshr_b32 s0, s0, 2
	s_and_b32 s0, s0, 0x1ffffffc
	v_mov_b32_e32 v0, s0
	global_store_dword v0, v1, s[2:3]
	s_endpgm
	.section	.rodata,"a",@progbits
	.p2align	6, 0x0
	.amdhsa_kernel _Z18warp_reduce_kernelIiLj1ELj61EENSt9enable_ifIXsr10test_utilsE35device_test_enabled_for_warp_size_vIXT1_EEEvE4typeEPT_S4_
		.amdhsa_group_segment_fixed_size 244
		.amdhsa_private_segment_fixed_size 0
		.amdhsa_kernarg_size 272
		.amdhsa_user_sgpr_count 6
		.amdhsa_user_sgpr_private_segment_buffer 1
		.amdhsa_user_sgpr_dispatch_ptr 0
		.amdhsa_user_sgpr_queue_ptr 0
		.amdhsa_user_sgpr_kernarg_segment_ptr 1
		.amdhsa_user_sgpr_dispatch_id 0
		.amdhsa_user_sgpr_flat_scratch_init 0
		.amdhsa_user_sgpr_kernarg_preload_length 0
		.amdhsa_user_sgpr_kernarg_preload_offset 0
		.amdhsa_user_sgpr_private_segment_size 0
		.amdhsa_uses_dynamic_stack 0
		.amdhsa_system_sgpr_private_segment_wavefront_offset 0
		.amdhsa_system_sgpr_workgroup_id_x 1
		.amdhsa_system_sgpr_workgroup_id_y 0
		.amdhsa_system_sgpr_workgroup_id_z 0
		.amdhsa_system_sgpr_workgroup_info 0
		.amdhsa_system_vgpr_workitem_id 0
		.amdhsa_next_free_vgpr 4
		.amdhsa_next_free_sgpr 8
		.amdhsa_accum_offset 4
		.amdhsa_reserve_vcc 1
		.amdhsa_reserve_flat_scratch 0
		.amdhsa_float_round_mode_32 0
		.amdhsa_float_round_mode_16_64 0
		.amdhsa_float_denorm_mode_32 3
		.amdhsa_float_denorm_mode_16_64 3
		.amdhsa_dx10_clamp 1
		.amdhsa_ieee_mode 1
		.amdhsa_fp16_overflow 0
		.amdhsa_tg_split 0
		.amdhsa_exception_fp_ieee_invalid_op 0
		.amdhsa_exception_fp_denorm_src 0
		.amdhsa_exception_fp_ieee_div_zero 0
		.amdhsa_exception_fp_ieee_overflow 0
		.amdhsa_exception_fp_ieee_underflow 0
		.amdhsa_exception_fp_ieee_inexact 0
		.amdhsa_exception_int_div_zero 0
	.end_amdhsa_kernel
	.section	.text._Z18warp_reduce_kernelIiLj1ELj61EENSt9enable_ifIXsr10test_utilsE35device_test_enabled_for_warp_size_vIXT1_EEEvE4typeEPT_S4_,"axG",@progbits,_Z18warp_reduce_kernelIiLj1ELj61EENSt9enable_ifIXsr10test_utilsE35device_test_enabled_for_warp_size_vIXT1_EEEvE4typeEPT_S4_,comdat
.Lfunc_end10:
	.size	_Z18warp_reduce_kernelIiLj1ELj61EENSt9enable_ifIXsr10test_utilsE35device_test_enabled_for_warp_size_vIXT1_EEEvE4typeEPT_S4_, .Lfunc_end10-_Z18warp_reduce_kernelIiLj1ELj61EENSt9enable_ifIXsr10test_utilsE35device_test_enabled_for_warp_size_vIXT1_EEEvE4typeEPT_S4_
                                        ; -- End function
	.section	.AMDGPU.csdata,"",@progbits
; Kernel info:
; codeLenInByte = 472
; NumSgprs: 12
; NumVgprs: 4
; NumAgprs: 0
; TotalNumVgprs: 4
; ScratchSize: 0
; MemoryBound: 0
; FloatMode: 240
; IeeeMode: 1
; LDSByteSize: 244 bytes/workgroup (compile time only)
; SGPRBlocks: 1
; VGPRBlocks: 0
; NumSGPRsForWavesPerEU: 12
; NumVGPRsForWavesPerEU: 4
; AccumOffset: 4
; Occupancy: 8
; WaveLimiterHint : 0
; COMPUTE_PGM_RSRC2:SCRATCH_EN: 0
; COMPUTE_PGM_RSRC2:USER_SGPR: 6
; COMPUTE_PGM_RSRC2:TRAP_HANDLER: 0
; COMPUTE_PGM_RSRC2:TGID_X_EN: 1
; COMPUTE_PGM_RSRC2:TGID_Y_EN: 0
; COMPUTE_PGM_RSRC2:TGID_Z_EN: 0
; COMPUTE_PGM_RSRC2:TIDIG_COMP_CNT: 0
; COMPUTE_PGM_RSRC3_GFX90A:ACCUM_OFFSET: 0
; COMPUTE_PGM_RSRC3_GFX90A:TG_SPLIT: 0
	.section	.text._Z18warp_reduce_kernelIiLj61ELj61EENSt9enable_ifIXsr10test_utilsE35device_test_enabled_for_warp_size_vIXT1_EEEvE4typeEPT_S4_,"axG",@progbits,_Z18warp_reduce_kernelIiLj61ELj61EENSt9enable_ifIXsr10test_utilsE35device_test_enabled_for_warp_size_vIXT1_EEEvE4typeEPT_S4_,comdat
	.protected	_Z18warp_reduce_kernelIiLj61ELj61EENSt9enable_ifIXsr10test_utilsE35device_test_enabled_for_warp_size_vIXT1_EEEvE4typeEPT_S4_ ; -- Begin function _Z18warp_reduce_kernelIiLj61ELj61EENSt9enable_ifIXsr10test_utilsE35device_test_enabled_for_warp_size_vIXT1_EEEvE4typeEPT_S4_
	.globl	_Z18warp_reduce_kernelIiLj61ELj61EENSt9enable_ifIXsr10test_utilsE35device_test_enabled_for_warp_size_vIXT1_EEEvE4typeEPT_S4_
	.p2align	8
	.type	_Z18warp_reduce_kernelIiLj61ELj61EENSt9enable_ifIXsr10test_utilsE35device_test_enabled_for_warp_size_vIXT1_EEEvE4typeEPT_S4_,@function
_Z18warp_reduce_kernelIiLj61ELj61EENSt9enable_ifIXsr10test_utilsE35device_test_enabled_for_warp_size_vIXT1_EEEvE4typeEPT_S4_: ; @_Z18warp_reduce_kernelIiLj61ELj61EENSt9enable_ifIXsr10test_utilsE35device_test_enabled_for_warp_size_vIXT1_EEEvE4typeEPT_S4_
; %bb.0:
	s_load_dword s7, s[4:5], 0x1c
	s_load_dwordx4 s[0:3], s[4:5], 0x0
	v_mov_b32_e32 v3, 0
	s_waitcnt lgkmcnt(0)
	s_and_b32 s4, s7, 0xffff
	s_mul_i32 s6, s6, s4
	v_add_u32_e32 v2, s6, v0
	v_lshlrev_b64 v[4:5], 2, v[2:3]
	v_mov_b32_e32 v1, s1
	v_add_co_u32_e32 v4, vcc, s0, v4
	v_addc_co_u32_e32 v5, vcc, v1, v5, vcc
	global_load_dword v1, v[4:5], off
	v_mbcnt_lo_u32_b32 v3, -1, 0
	s_mov_b32 s1, 0x4325c54
	v_mul_u32_u24_e32 v4, 0x433, v0
	v_mbcnt_hi_u32_b32 v5, -1, v3
	v_lshrrev_b32_e32 v3, 16, v4
	v_mul_hi_u32 v4, v5, s1
	v_mul_u32_u24_e32 v4, 61, v4
	v_sub_u32_e32 v5, v5, v4
	s_movk_i32 s0, 0xf4
	v_lshlrev_b32_e32 v4, 2, v5
	v_mad_u32_u24 v4, v3, s0, v4
	v_cmp_gt_u32_e32 vcc, 29, v5
	s_waitcnt vmcnt(0)
	ds_write_b32 v4, v1
	; wave barrier
	s_and_saveexec_b64 s[0:1], vcc
	s_cbranch_execz .LBB11_2
; %bb.1:
	ds_read2_b32 v[6:7], v4 offset1:32
	s_waitcnt lgkmcnt(0)
	v_add_u32_e32 v1, v7, v6
.LBB11_2:
	s_or_b64 exec, exec, s[0:1]
	; wave barrier
	s_and_saveexec_b64 s[0:1], vcc
	s_cbranch_execz .LBB11_4
; %bb.3:
	ds_write_b32 v4, v1
.LBB11_4:
	s_or_b64 exec, exec, s[0:1]
	v_cmp_gt_u32_e32 vcc, 16, v5
	; wave barrier
	s_and_saveexec_b64 s[0:1], vcc
	s_cbranch_execz .LBB11_6
; %bb.5:
	ds_read2_b32 v[6:7], v4 offset1:16
	s_waitcnt lgkmcnt(0)
	v_add_u32_e32 v1, v7, v6
.LBB11_6:
	s_or_b64 exec, exec, s[0:1]
	; wave barrier
	s_and_saveexec_b64 s[0:1], vcc
	s_cbranch_execz .LBB11_8
; %bb.7:
	ds_write_b32 v4, v1
.LBB11_8:
	s_or_b64 exec, exec, s[0:1]
	v_cmp_gt_u32_e32 vcc, 8, v5
	;; [unrolled: 17-line block ×4, first 2 shown]
	; wave barrier
	s_and_saveexec_b64 s[0:1], vcc
	s_cbranch_execz .LBB11_18
; %bb.17:
	ds_read2_b32 v[6:7], v4 offset1:2
	s_waitcnt lgkmcnt(0)
	v_add_u32_e32 v1, v7, v6
.LBB11_18:
	s_or_b64 exec, exec, s[0:1]
	; wave barrier
	s_and_saveexec_b64 s[0:1], vcc
	s_cbranch_execz .LBB11_20
; %bb.19:
	ds_write_b32 v4, v1
.LBB11_20:
	s_or_b64 exec, exec, s[0:1]
	v_cmp_eq_u32_e32 vcc, 0, v5
	; wave barrier
	s_and_saveexec_b64 s[0:1], vcc
	s_cbranch_execz .LBB11_22
; %bb.21:
	v_mul_u32_u24_e32 v1, 0xf4, v3
	ds_read_b32 v5, v4
	ds_read_b32 v1, v1 offset:4
	s_waitcnt lgkmcnt(0)
	v_add_u32_e32 v1, v1, v5
.LBB11_22:
	s_or_b64 exec, exec, s[0:1]
	; wave barrier
	s_and_saveexec_b64 s[0:1], vcc
	s_cbranch_execz .LBB11_24
; %bb.23:
	ds_write_b32 v4, v1
.LBB11_24:
	s_or_b64 exec, exec, s[0:1]
	v_mul_lo_u16_e32 v3, 61, v3
	v_sub_u16_e32 v0, v0, v3
	v_cmp_eq_u16_e32 vcc, 0, v0
	; wave barrier
	s_and_saveexec_b64 s[0:1], vcc
	s_cbranch_execz .LBB11_26
; %bb.25:
	s_mov_b32 s0, 0x4325c53f
	v_mul_hi_u32 v0, v2, s0
	v_lshrrev_b32_e32 v0, 2, v0
	v_and_b32_e32 v0, 0x1ffffffc, v0
	global_store_dword v0, v1, s[2:3]
.LBB11_26:
	s_endpgm
	.section	.rodata,"a",@progbits
	.p2align	6, 0x0
	.amdhsa_kernel _Z18warp_reduce_kernelIiLj61ELj61EENSt9enable_ifIXsr10test_utilsE35device_test_enabled_for_warp_size_vIXT1_EEEvE4typeEPT_S4_
		.amdhsa_group_segment_fixed_size 244
		.amdhsa_private_segment_fixed_size 0
		.amdhsa_kernarg_size 272
		.amdhsa_user_sgpr_count 6
		.amdhsa_user_sgpr_private_segment_buffer 1
		.amdhsa_user_sgpr_dispatch_ptr 0
		.amdhsa_user_sgpr_queue_ptr 0
		.amdhsa_user_sgpr_kernarg_segment_ptr 1
		.amdhsa_user_sgpr_dispatch_id 0
		.amdhsa_user_sgpr_flat_scratch_init 0
		.amdhsa_user_sgpr_kernarg_preload_length 0
		.amdhsa_user_sgpr_kernarg_preload_offset 0
		.amdhsa_user_sgpr_private_segment_size 0
		.amdhsa_uses_dynamic_stack 0
		.amdhsa_system_sgpr_private_segment_wavefront_offset 0
		.amdhsa_system_sgpr_workgroup_id_x 1
		.amdhsa_system_sgpr_workgroup_id_y 0
		.amdhsa_system_sgpr_workgroup_id_z 0
		.amdhsa_system_sgpr_workgroup_info 0
		.amdhsa_system_vgpr_workitem_id 0
		.amdhsa_next_free_vgpr 8
		.amdhsa_next_free_sgpr 8
		.amdhsa_accum_offset 8
		.amdhsa_reserve_vcc 1
		.amdhsa_reserve_flat_scratch 0
		.amdhsa_float_round_mode_32 0
		.amdhsa_float_round_mode_16_64 0
		.amdhsa_float_denorm_mode_32 3
		.amdhsa_float_denorm_mode_16_64 3
		.amdhsa_dx10_clamp 1
		.amdhsa_ieee_mode 1
		.amdhsa_fp16_overflow 0
		.amdhsa_tg_split 0
		.amdhsa_exception_fp_ieee_invalid_op 0
		.amdhsa_exception_fp_denorm_src 0
		.amdhsa_exception_fp_ieee_div_zero 0
		.amdhsa_exception_fp_ieee_overflow 0
		.amdhsa_exception_fp_ieee_underflow 0
		.amdhsa_exception_fp_ieee_inexact 0
		.amdhsa_exception_int_div_zero 0
	.end_amdhsa_kernel
	.section	.text._Z18warp_reduce_kernelIiLj61ELj61EENSt9enable_ifIXsr10test_utilsE35device_test_enabled_for_warp_size_vIXT1_EEEvE4typeEPT_S4_,"axG",@progbits,_Z18warp_reduce_kernelIiLj61ELj61EENSt9enable_ifIXsr10test_utilsE35device_test_enabled_for_warp_size_vIXT1_EEEvE4typeEPT_S4_,comdat
.Lfunc_end11:
	.size	_Z18warp_reduce_kernelIiLj61ELj61EENSt9enable_ifIXsr10test_utilsE35device_test_enabled_for_warp_size_vIXT1_EEEvE4typeEPT_S4_, .Lfunc_end11-_Z18warp_reduce_kernelIiLj61ELj61EENSt9enable_ifIXsr10test_utilsE35device_test_enabled_for_warp_size_vIXT1_EEEvE4typeEPT_S4_
                                        ; -- End function
	.section	.AMDGPU.csdata,"",@progbits
; Kernel info:
; codeLenInByte = 536
; NumSgprs: 12
; NumVgprs: 8
; NumAgprs: 0
; TotalNumVgprs: 8
; ScratchSize: 0
; MemoryBound: 0
; FloatMode: 240
; IeeeMode: 1
; LDSByteSize: 244 bytes/workgroup (compile time only)
; SGPRBlocks: 1
; VGPRBlocks: 0
; NumSGPRsForWavesPerEU: 12
; NumVGPRsForWavesPerEU: 8
; AccumOffset: 8
; Occupancy: 8
; WaveLimiterHint : 0
; COMPUTE_PGM_RSRC2:SCRATCH_EN: 0
; COMPUTE_PGM_RSRC2:USER_SGPR: 6
; COMPUTE_PGM_RSRC2:TRAP_HANDLER: 0
; COMPUTE_PGM_RSRC2:TGID_X_EN: 1
; COMPUTE_PGM_RSRC2:TGID_Y_EN: 0
; COMPUTE_PGM_RSRC2:TGID_Z_EN: 0
; COMPUTE_PGM_RSRC2:TIDIG_COMP_CNT: 0
; COMPUTE_PGM_RSRC3_GFX90A:ACCUM_OFFSET: 1
; COMPUTE_PGM_RSRC3_GFX90A:TG_SPLIT: 0
	.section	.text._Z18warp_reduce_kernelIiLj1ELj37EENSt9enable_ifIXsr10test_utilsE35device_test_enabled_for_warp_size_vIXT1_EEEvE4typeEPT_S4_,"axG",@progbits,_Z18warp_reduce_kernelIiLj1ELj37EENSt9enable_ifIXsr10test_utilsE35device_test_enabled_for_warp_size_vIXT1_EEEvE4typeEPT_S4_,comdat
	.protected	_Z18warp_reduce_kernelIiLj1ELj37EENSt9enable_ifIXsr10test_utilsE35device_test_enabled_for_warp_size_vIXT1_EEEvE4typeEPT_S4_ ; -- Begin function _Z18warp_reduce_kernelIiLj1ELj37EENSt9enable_ifIXsr10test_utilsE35device_test_enabled_for_warp_size_vIXT1_EEEvE4typeEPT_S4_
	.globl	_Z18warp_reduce_kernelIiLj1ELj37EENSt9enable_ifIXsr10test_utilsE35device_test_enabled_for_warp_size_vIXT1_EEEvE4typeEPT_S4_
	.p2align	8
	.type	_Z18warp_reduce_kernelIiLj1ELj37EENSt9enable_ifIXsr10test_utilsE35device_test_enabled_for_warp_size_vIXT1_EEEvE4typeEPT_S4_,@function
_Z18warp_reduce_kernelIiLj1ELj37EENSt9enable_ifIXsr10test_utilsE35device_test_enabled_for_warp_size_vIXT1_EEEvE4typeEPT_S4_: ; @_Z18warp_reduce_kernelIiLj1ELj37EENSt9enable_ifIXsr10test_utilsE35device_test_enabled_for_warp_size_vIXT1_EEEvE4typeEPT_S4_
; %bb.0:
	s_load_dword s7, s[4:5], 0x1c
	s_load_dwordx4 s[0:3], s[4:5], 0x0
	s_mov_b32 s5, 0
	v_mbcnt_lo_u32_b32 v0, -1, 0
	v_mbcnt_hi_u32_b32 v0, -1, v0
	s_waitcnt lgkmcnt(0)
	s_and_b32 s4, s7, 0xffff
	s_mul_i32 s4, s6, s4
	s_lshl_b64 s[6:7], s[4:5], 2
	s_add_u32 s0, s0, s6
	s_addc_u32 s1, s1, s7
	s_load_dword s0, s[0:1], 0x0
	s_mov_b32 s1, 0x6eb3e46
	v_mul_hi_u32 v1, v0, s1
	v_mul_u32_u24_e32 v1, 37, v1
	v_sub_u32_e32 v1, v0, v1
	v_cmp_lt_u32_e32 vcc, 4, v1
	v_readfirstlane_b32 s5, v1
	v_lshlrev_b32_e32 v0, 2, v1
	s_waitcnt lgkmcnt(0)
	v_mov_b32_e32 v2, s0
	s_and_b64 s[6:7], vcc, exec
	v_cmp_gt_u32_e32 vcc, 5, v1
	ds_write_b32 v0, v2
	; wave barrier
	s_cbranch_scc1 .LBB12_2
; %bb.1:
	ds_read2_b32 v[2:3], v0 offset1:32
	s_waitcnt lgkmcnt(0)
	v_add_u32_e32 v1, v3, v2
	s_branch .LBB12_3
.LBB12_2:
	v_mov_b32_e32 v1, s0
.LBB12_3:
	s_andn2_b64 vcc, exec, vcc
	; wave barrier
	s_cbranch_vccnz .LBB12_5
; %bb.4:
	ds_write_b32 v0, v1
.LBB12_5:
	s_cmp_lt_u32 s5, 16
	s_cselect_b64 s[0:1], -1, 0
	s_cmp_gt_u32 s5, 15
	; wave barrier
	s_cbranch_scc1 .LBB12_7
; %bb.6:
	ds_read2_b32 v[2:3], v0 offset1:16
	s_waitcnt lgkmcnt(0)
	v_add_u32_e32 v1, v3, v2
.LBB12_7:
	s_andn2_b64 vcc, exec, s[0:1]
	; wave barrier
	s_cbranch_vccnz .LBB12_9
; %bb.8:
	ds_write_b32 v0, v1
.LBB12_9:
	s_cmp_lt_u32 s5, 8
	s_cselect_b64 s[0:1], -1, 0
	s_cmp_gt_u32 s5, 7
	; wave barrier
	s_cbranch_scc1 .LBB12_11
; %bb.10:
	ds_read2_b32 v[2:3], v0 offset1:8
	s_waitcnt lgkmcnt(0)
	v_add_u32_e32 v1, v3, v2
.LBB12_11:
	s_andn2_b64 vcc, exec, s[0:1]
	;; [unrolled: 16-line block ×4, first 2 shown]
	; wave barrier
	s_cbranch_vccnz .LBB12_21
; %bb.20:
	ds_write_b32 v0, v1
.LBB12_21:
	s_cmp_eq_u32 s5, 0
	s_cselect_b64 s[0:1], -1, 0
	s_cmp_lg_u32 s5, 0
	; wave barrier
	s_cbranch_scc1 .LBB12_23
; %bb.22:
	v_mov_b32_e32 v1, 0
	ds_read_b32 v2, v0
	ds_read_b32 v1, v1 offset:4
	s_waitcnt lgkmcnt(0)
	v_add_u32_e32 v1, v1, v2
.LBB12_23:
	s_andn2_b64 vcc, exec, s[0:1]
	; wave barrier
	s_cbranch_vccnz .LBB12_25
; %bb.24:
	ds_write_b32 v0, v1
.LBB12_25:
	; wave barrier
	s_branch .LBB12_27
; %bb.26:
	s_endpgm
.LBB12_27:
	s_mul_hi_u32 s0, s4, 0xbacf914d
	s_sub_i32 s1, s4, s0
	s_lshr_b32 s1, s1, 1
	s_add_i32 s1, s1, s0
	s_lshr_b32 s0, s1, 3
	s_and_b32 s0, s0, 0x1ffffffc
	v_mov_b32_e32 v0, s0
	global_store_dword v0, v1, s[2:3]
	s_endpgm
	.section	.rodata,"a",@progbits
	.p2align	6, 0x0
	.amdhsa_kernel _Z18warp_reduce_kernelIiLj1ELj37EENSt9enable_ifIXsr10test_utilsE35device_test_enabled_for_warp_size_vIXT1_EEEvE4typeEPT_S4_
		.amdhsa_group_segment_fixed_size 148
		.amdhsa_private_segment_fixed_size 0
		.amdhsa_kernarg_size 272
		.amdhsa_user_sgpr_count 6
		.amdhsa_user_sgpr_private_segment_buffer 1
		.amdhsa_user_sgpr_dispatch_ptr 0
		.amdhsa_user_sgpr_queue_ptr 0
		.amdhsa_user_sgpr_kernarg_segment_ptr 1
		.amdhsa_user_sgpr_dispatch_id 0
		.amdhsa_user_sgpr_flat_scratch_init 0
		.amdhsa_user_sgpr_kernarg_preload_length 0
		.amdhsa_user_sgpr_kernarg_preload_offset 0
		.amdhsa_user_sgpr_private_segment_size 0
		.amdhsa_uses_dynamic_stack 0
		.amdhsa_system_sgpr_private_segment_wavefront_offset 0
		.amdhsa_system_sgpr_workgroup_id_x 1
		.amdhsa_system_sgpr_workgroup_id_y 0
		.amdhsa_system_sgpr_workgroup_id_z 0
		.amdhsa_system_sgpr_workgroup_info 0
		.amdhsa_system_vgpr_workitem_id 0
		.amdhsa_next_free_vgpr 4
		.amdhsa_next_free_sgpr 8
		.amdhsa_accum_offset 4
		.amdhsa_reserve_vcc 1
		.amdhsa_reserve_flat_scratch 0
		.amdhsa_float_round_mode_32 0
		.amdhsa_float_round_mode_16_64 0
		.amdhsa_float_denorm_mode_32 3
		.amdhsa_float_denorm_mode_16_64 3
		.amdhsa_dx10_clamp 1
		.amdhsa_ieee_mode 1
		.amdhsa_fp16_overflow 0
		.amdhsa_tg_split 0
		.amdhsa_exception_fp_ieee_invalid_op 0
		.amdhsa_exception_fp_denorm_src 0
		.amdhsa_exception_fp_ieee_div_zero 0
		.amdhsa_exception_fp_ieee_overflow 0
		.amdhsa_exception_fp_ieee_underflow 0
		.amdhsa_exception_fp_ieee_inexact 0
		.amdhsa_exception_int_div_zero 0
	.end_amdhsa_kernel
	.section	.text._Z18warp_reduce_kernelIiLj1ELj37EENSt9enable_ifIXsr10test_utilsE35device_test_enabled_for_warp_size_vIXT1_EEEvE4typeEPT_S4_,"axG",@progbits,_Z18warp_reduce_kernelIiLj1ELj37EENSt9enable_ifIXsr10test_utilsE35device_test_enabled_for_warp_size_vIXT1_EEEvE4typeEPT_S4_,comdat
.Lfunc_end12:
	.size	_Z18warp_reduce_kernelIiLj1ELj37EENSt9enable_ifIXsr10test_utilsE35device_test_enabled_for_warp_size_vIXT1_EEEvE4typeEPT_S4_, .Lfunc_end12-_Z18warp_reduce_kernelIiLj1ELj37EENSt9enable_ifIXsr10test_utilsE35device_test_enabled_for_warp_size_vIXT1_EEEvE4typeEPT_S4_
                                        ; -- End function
	.section	.AMDGPU.csdata,"",@progbits
; Kernel info:
; codeLenInByte = 484
; NumSgprs: 12
; NumVgprs: 4
; NumAgprs: 0
; TotalNumVgprs: 4
; ScratchSize: 0
; MemoryBound: 0
; FloatMode: 240
; IeeeMode: 1
; LDSByteSize: 148 bytes/workgroup (compile time only)
; SGPRBlocks: 1
; VGPRBlocks: 0
; NumSGPRsForWavesPerEU: 12
; NumVGPRsForWavesPerEU: 4
; AccumOffset: 4
; Occupancy: 8
; WaveLimiterHint : 0
; COMPUTE_PGM_RSRC2:SCRATCH_EN: 0
; COMPUTE_PGM_RSRC2:USER_SGPR: 6
; COMPUTE_PGM_RSRC2:TRAP_HANDLER: 0
; COMPUTE_PGM_RSRC2:TGID_X_EN: 1
; COMPUTE_PGM_RSRC2:TGID_Y_EN: 0
; COMPUTE_PGM_RSRC2:TGID_Z_EN: 0
; COMPUTE_PGM_RSRC2:TIDIG_COMP_CNT: 0
; COMPUTE_PGM_RSRC3_GFX90A:ACCUM_OFFSET: 0
; COMPUTE_PGM_RSRC3_GFX90A:TG_SPLIT: 0
	.section	.text._Z18warp_reduce_kernelIiLj37ELj37EENSt9enable_ifIXsr10test_utilsE35device_test_enabled_for_warp_size_vIXT1_EEEvE4typeEPT_S4_,"axG",@progbits,_Z18warp_reduce_kernelIiLj37ELj37EENSt9enable_ifIXsr10test_utilsE35device_test_enabled_for_warp_size_vIXT1_EEEvE4typeEPT_S4_,comdat
	.protected	_Z18warp_reduce_kernelIiLj37ELj37EENSt9enable_ifIXsr10test_utilsE35device_test_enabled_for_warp_size_vIXT1_EEEvE4typeEPT_S4_ ; -- Begin function _Z18warp_reduce_kernelIiLj37ELj37EENSt9enable_ifIXsr10test_utilsE35device_test_enabled_for_warp_size_vIXT1_EEEvE4typeEPT_S4_
	.globl	_Z18warp_reduce_kernelIiLj37ELj37EENSt9enable_ifIXsr10test_utilsE35device_test_enabled_for_warp_size_vIXT1_EEEvE4typeEPT_S4_
	.p2align	8
	.type	_Z18warp_reduce_kernelIiLj37ELj37EENSt9enable_ifIXsr10test_utilsE35device_test_enabled_for_warp_size_vIXT1_EEEvE4typeEPT_S4_,@function
_Z18warp_reduce_kernelIiLj37ELj37EENSt9enable_ifIXsr10test_utilsE35device_test_enabled_for_warp_size_vIXT1_EEEvE4typeEPT_S4_: ; @_Z18warp_reduce_kernelIiLj37ELj37EENSt9enable_ifIXsr10test_utilsE35device_test_enabled_for_warp_size_vIXT1_EEEvE4typeEPT_S4_
; %bb.0:
	s_load_dword s7, s[4:5], 0x1c
	s_load_dwordx4 s[0:3], s[4:5], 0x0
	v_mov_b32_e32 v3, 0
	s_waitcnt lgkmcnt(0)
	s_and_b32 s4, s7, 0xffff
	s_mul_i32 s6, s6, s4
	v_add_u32_e32 v2, s6, v0
	v_lshlrev_b64 v[4:5], 2, v[2:3]
	v_mov_b32_e32 v1, s1
	v_add_co_u32_e32 v4, vcc, s0, v4
	v_addc_co_u32_e32 v5, vcc, v1, v5, vcc
	global_load_dword v1, v[4:5], off
	v_mbcnt_lo_u32_b32 v3, -1, 0
	s_mov_b32 s1, 0x6eb3e46
	v_mul_u32_u24_e32 v4, 0x6ec, v0
	v_mbcnt_hi_u32_b32 v5, -1, v3
	v_lshrrev_b32_e32 v3, 16, v4
	v_mul_hi_u32 v4, v5, s1
	v_mul_u32_u24_e32 v4, 37, v4
	v_sub_u32_e32 v5, v5, v4
	s_movk_i32 s0, 0x94
	v_lshlrev_b32_e32 v4, 2, v5
	v_mad_u32_u24 v4, v3, s0, v4
	v_cmp_gt_u32_e32 vcc, 5, v5
	s_waitcnt vmcnt(0)
	ds_write_b32 v4, v1
	; wave barrier
	s_and_saveexec_b64 s[0:1], vcc
	s_cbranch_execz .LBB13_2
; %bb.1:
	ds_read2_b32 v[6:7], v4 offset1:32
	s_waitcnt lgkmcnt(0)
	v_add_u32_e32 v1, v7, v6
.LBB13_2:
	s_or_b64 exec, exec, s[0:1]
	; wave barrier
	s_and_saveexec_b64 s[0:1], vcc
	s_cbranch_execz .LBB13_4
; %bb.3:
	ds_write_b32 v4, v1
.LBB13_4:
	s_or_b64 exec, exec, s[0:1]
	v_cmp_gt_u32_e32 vcc, 16, v5
	; wave barrier
	s_and_saveexec_b64 s[0:1], vcc
	s_cbranch_execz .LBB13_6
; %bb.5:
	ds_read2_b32 v[6:7], v4 offset1:16
	s_waitcnt lgkmcnt(0)
	v_add_u32_e32 v1, v7, v6
.LBB13_6:
	s_or_b64 exec, exec, s[0:1]
	; wave barrier
	s_and_saveexec_b64 s[0:1], vcc
	s_cbranch_execz .LBB13_8
; %bb.7:
	ds_write_b32 v4, v1
.LBB13_8:
	s_or_b64 exec, exec, s[0:1]
	v_cmp_gt_u32_e32 vcc, 8, v5
	;; [unrolled: 17-line block ×4, first 2 shown]
	; wave barrier
	s_and_saveexec_b64 s[0:1], vcc
	s_cbranch_execz .LBB13_18
; %bb.17:
	ds_read2_b32 v[6:7], v4 offset1:2
	s_waitcnt lgkmcnt(0)
	v_add_u32_e32 v1, v7, v6
.LBB13_18:
	s_or_b64 exec, exec, s[0:1]
	; wave barrier
	s_and_saveexec_b64 s[0:1], vcc
	s_cbranch_execz .LBB13_20
; %bb.19:
	ds_write_b32 v4, v1
.LBB13_20:
	s_or_b64 exec, exec, s[0:1]
	v_cmp_eq_u32_e32 vcc, 0, v5
	; wave barrier
	s_and_saveexec_b64 s[0:1], vcc
	s_cbranch_execz .LBB13_22
; %bb.21:
	v_mul_u32_u24_e32 v1, 0x94, v3
	ds_read_b32 v5, v4
	ds_read_b32 v1, v1 offset:4
	s_waitcnt lgkmcnt(0)
	v_add_u32_e32 v1, v1, v5
.LBB13_22:
	s_or_b64 exec, exec, s[0:1]
	; wave barrier
	s_and_saveexec_b64 s[0:1], vcc
	s_cbranch_execz .LBB13_24
; %bb.23:
	ds_write_b32 v4, v1
.LBB13_24:
	s_or_b64 exec, exec, s[0:1]
	v_mul_lo_u16_e32 v3, 37, v3
	v_sub_u16_e32 v0, v0, v3
	v_cmp_eq_u16_e32 vcc, 0, v0
	; wave barrier
	s_and_saveexec_b64 s[0:1], vcc
	s_cbranch_execz .LBB13_26
; %bb.25:
	s_mov_b32 s0, 0xbacf914d
	v_mul_hi_u32 v0, v2, s0
	v_sub_u32_e32 v2, v2, v0
	v_lshrrev_b32_e32 v2, 1, v2
	v_add_u32_e32 v0, v2, v0
	v_lshrrev_b32_e32 v0, 3, v0
	v_and_b32_e32 v0, 0x1ffffffc, v0
	global_store_dword v0, v1, s[2:3]
.LBB13_26:
	s_endpgm
	.section	.rodata,"a",@progbits
	.p2align	6, 0x0
	.amdhsa_kernel _Z18warp_reduce_kernelIiLj37ELj37EENSt9enable_ifIXsr10test_utilsE35device_test_enabled_for_warp_size_vIXT1_EEEvE4typeEPT_S4_
		.amdhsa_group_segment_fixed_size 148
		.amdhsa_private_segment_fixed_size 0
		.amdhsa_kernarg_size 272
		.amdhsa_user_sgpr_count 6
		.amdhsa_user_sgpr_private_segment_buffer 1
		.amdhsa_user_sgpr_dispatch_ptr 0
		.amdhsa_user_sgpr_queue_ptr 0
		.amdhsa_user_sgpr_kernarg_segment_ptr 1
		.amdhsa_user_sgpr_dispatch_id 0
		.amdhsa_user_sgpr_flat_scratch_init 0
		.amdhsa_user_sgpr_kernarg_preload_length 0
		.amdhsa_user_sgpr_kernarg_preload_offset 0
		.amdhsa_user_sgpr_private_segment_size 0
		.amdhsa_uses_dynamic_stack 0
		.amdhsa_system_sgpr_private_segment_wavefront_offset 0
		.amdhsa_system_sgpr_workgroup_id_x 1
		.amdhsa_system_sgpr_workgroup_id_y 0
		.amdhsa_system_sgpr_workgroup_id_z 0
		.amdhsa_system_sgpr_workgroup_info 0
		.amdhsa_system_vgpr_workitem_id 0
		.amdhsa_next_free_vgpr 8
		.amdhsa_next_free_sgpr 8
		.amdhsa_accum_offset 8
		.amdhsa_reserve_vcc 1
		.amdhsa_reserve_flat_scratch 0
		.amdhsa_float_round_mode_32 0
		.amdhsa_float_round_mode_16_64 0
		.amdhsa_float_denorm_mode_32 3
		.amdhsa_float_denorm_mode_16_64 3
		.amdhsa_dx10_clamp 1
		.amdhsa_ieee_mode 1
		.amdhsa_fp16_overflow 0
		.amdhsa_tg_split 0
		.amdhsa_exception_fp_ieee_invalid_op 0
		.amdhsa_exception_fp_denorm_src 0
		.amdhsa_exception_fp_ieee_div_zero 0
		.amdhsa_exception_fp_ieee_overflow 0
		.amdhsa_exception_fp_ieee_underflow 0
		.amdhsa_exception_fp_ieee_inexact 0
		.amdhsa_exception_int_div_zero 0
	.end_amdhsa_kernel
	.section	.text._Z18warp_reduce_kernelIiLj37ELj37EENSt9enable_ifIXsr10test_utilsE35device_test_enabled_for_warp_size_vIXT1_EEEvE4typeEPT_S4_,"axG",@progbits,_Z18warp_reduce_kernelIiLj37ELj37EENSt9enable_ifIXsr10test_utilsE35device_test_enabled_for_warp_size_vIXT1_EEEvE4typeEPT_S4_,comdat
.Lfunc_end13:
	.size	_Z18warp_reduce_kernelIiLj37ELj37EENSt9enable_ifIXsr10test_utilsE35device_test_enabled_for_warp_size_vIXT1_EEEvE4typeEPT_S4_, .Lfunc_end13-_Z18warp_reduce_kernelIiLj37ELj37EENSt9enable_ifIXsr10test_utilsE35device_test_enabled_for_warp_size_vIXT1_EEEvE4typeEPT_S4_
                                        ; -- End function
	.section	.AMDGPU.csdata,"",@progbits
; Kernel info:
; codeLenInByte = 548
; NumSgprs: 12
; NumVgprs: 8
; NumAgprs: 0
; TotalNumVgprs: 8
; ScratchSize: 0
; MemoryBound: 0
; FloatMode: 240
; IeeeMode: 1
; LDSByteSize: 148 bytes/workgroup (compile time only)
; SGPRBlocks: 1
; VGPRBlocks: 0
; NumSGPRsForWavesPerEU: 12
; NumVGPRsForWavesPerEU: 8
; AccumOffset: 8
; Occupancy: 8
; WaveLimiterHint : 0
; COMPUTE_PGM_RSRC2:SCRATCH_EN: 0
; COMPUTE_PGM_RSRC2:USER_SGPR: 6
; COMPUTE_PGM_RSRC2:TRAP_HANDLER: 0
; COMPUTE_PGM_RSRC2:TGID_X_EN: 1
; COMPUTE_PGM_RSRC2:TGID_Y_EN: 0
; COMPUTE_PGM_RSRC2:TGID_Z_EN: 0
; COMPUTE_PGM_RSRC2:TIDIG_COMP_CNT: 0
; COMPUTE_PGM_RSRC3_GFX90A:ACCUM_OFFSET: 1
; COMPUTE_PGM_RSRC3_GFX90A:TG_SPLIT: 0
	.section	.text._Z18warp_reduce_kernelIiLj30ELj15EENSt9enable_ifIXsr10test_utilsE35device_test_enabled_for_warp_size_vIXT1_EEEvE4typeEPT_S4_,"axG",@progbits,_Z18warp_reduce_kernelIiLj30ELj15EENSt9enable_ifIXsr10test_utilsE35device_test_enabled_for_warp_size_vIXT1_EEEvE4typeEPT_S4_,comdat
	.protected	_Z18warp_reduce_kernelIiLj30ELj15EENSt9enable_ifIXsr10test_utilsE35device_test_enabled_for_warp_size_vIXT1_EEEvE4typeEPT_S4_ ; -- Begin function _Z18warp_reduce_kernelIiLj30ELj15EENSt9enable_ifIXsr10test_utilsE35device_test_enabled_for_warp_size_vIXT1_EEEvE4typeEPT_S4_
	.globl	_Z18warp_reduce_kernelIiLj30ELj15EENSt9enable_ifIXsr10test_utilsE35device_test_enabled_for_warp_size_vIXT1_EEEvE4typeEPT_S4_
	.p2align	8
	.type	_Z18warp_reduce_kernelIiLj30ELj15EENSt9enable_ifIXsr10test_utilsE35device_test_enabled_for_warp_size_vIXT1_EEEvE4typeEPT_S4_,@function
_Z18warp_reduce_kernelIiLj30ELj15EENSt9enable_ifIXsr10test_utilsE35device_test_enabled_for_warp_size_vIXT1_EEEvE4typeEPT_S4_: ; @_Z18warp_reduce_kernelIiLj30ELj15EENSt9enable_ifIXsr10test_utilsE35device_test_enabled_for_warp_size_vIXT1_EEEvE4typeEPT_S4_
; %bb.0:
	s_load_dword s7, s[4:5], 0x1c
	s_load_dwordx4 s[0:3], s[4:5], 0x0
	v_mov_b32_e32 v3, 0
	s_waitcnt lgkmcnt(0)
	s_and_b32 s4, s7, 0xffff
	s_mul_i32 s6, s6, s4
	v_add_u32_e32 v2, s6, v0
	v_lshlrev_b64 v[4:5], 2, v[2:3]
	v_mov_b32_e32 v1, s1
	v_add_co_u32_e32 v4, vcc, s0, v4
	v_addc_co_u32_e32 v5, vcc, v1, v5, vcc
	global_load_dword v1, v[4:5], off
	v_mbcnt_lo_u32_b32 v3, -1, 0
	s_mov_b32 s0, 0x11111112
	v_mul_u32_u24_e32 v4, 0x1112, v0
	v_mbcnt_hi_u32_b32 v5, -1, v3
	v_lshrrev_b32_e32 v3, 16, v4
	v_mul_hi_u32 v4, v5, s0
	v_mul_u32_u24_e32 v4, 15, v4
	v_sub_u32_e32 v5, v5, v4
	v_lshlrev_b32_e32 v4, 2, v5
	v_mad_u32_u24 v4, v3, 60, v4
	v_cmp_gt_u32_e32 vcc, 7, v5
	s_waitcnt vmcnt(0)
	ds_write_b32 v4, v1
	; wave barrier
	s_and_saveexec_b64 s[0:1], vcc
	s_cbranch_execz .LBB14_2
; %bb.1:
	ds_read2_b32 v[6:7], v4 offset1:8
	s_waitcnt lgkmcnt(0)
	v_add_u32_e32 v1, v7, v6
.LBB14_2:
	s_or_b64 exec, exec, s[0:1]
	; wave barrier
	s_and_saveexec_b64 s[0:1], vcc
	s_cbranch_execz .LBB14_4
; %bb.3:
	ds_write_b32 v4, v1
.LBB14_4:
	s_or_b64 exec, exec, s[0:1]
	v_cmp_gt_u32_e32 vcc, 4, v5
	; wave barrier
	s_and_saveexec_b64 s[0:1], vcc
	s_cbranch_execz .LBB14_6
; %bb.5:
	ds_read2_b32 v[6:7], v4 offset1:4
	s_waitcnt lgkmcnt(0)
	v_add_u32_e32 v1, v7, v6
.LBB14_6:
	s_or_b64 exec, exec, s[0:1]
	; wave barrier
	s_and_saveexec_b64 s[0:1], vcc
	s_cbranch_execz .LBB14_8
; %bb.7:
	ds_write_b32 v4, v1
.LBB14_8:
	s_or_b64 exec, exec, s[0:1]
	v_cmp_gt_u32_e32 vcc, 2, v5
	; wave barrier
	s_and_saveexec_b64 s[0:1], vcc
	s_cbranch_execz .LBB14_10
; %bb.9:
	ds_read2_b32 v[6:7], v4 offset1:2
	s_waitcnt lgkmcnt(0)
	v_add_u32_e32 v1, v7, v6
.LBB14_10:
	s_or_b64 exec, exec, s[0:1]
	; wave barrier
	s_and_saveexec_b64 s[0:1], vcc
	s_cbranch_execz .LBB14_12
; %bb.11:
	ds_write_b32 v4, v1
.LBB14_12:
	s_or_b64 exec, exec, s[0:1]
	v_cmp_eq_u32_e32 vcc, 0, v5
	; wave barrier
	s_and_saveexec_b64 s[0:1], vcc
	s_cbranch_execz .LBB14_14
; %bb.13:
	v_mul_u32_u24_e32 v1, 60, v3
	ds_read_b32 v5, v4
	ds_read_b32 v1, v1 offset:4
	s_waitcnt lgkmcnt(0)
	v_add_u32_e32 v1, v1, v5
.LBB14_14:
	s_or_b64 exec, exec, s[0:1]
	; wave barrier
	s_and_saveexec_b64 s[0:1], vcc
	s_cbranch_execz .LBB14_16
; %bb.15:
	ds_write_b32 v4, v1
.LBB14_16:
	s_or_b64 exec, exec, s[0:1]
	v_mul_lo_u16_e32 v3, 15, v3
	v_sub_u16_e32 v0, v0, v3
	v_cmp_eq_u16_e32 vcc, 0, v0
	; wave barrier
	s_and_saveexec_b64 s[0:1], vcc
	s_cbranch_execz .LBB14_18
; %bb.17:
	s_mov_b32 s0, 0x88888889
	v_mul_hi_u32 v0, v2, s0
	v_lshrrev_b32_e32 v0, 1, v0
	v_and_b32_e32 v0, 0x7ffffffc, v0
	global_store_dword v0, v1, s[2:3]
.LBB14_18:
	s_endpgm
	.section	.rodata,"a",@progbits
	.p2align	6, 0x0
	.amdhsa_kernel _Z18warp_reduce_kernelIiLj30ELj15EENSt9enable_ifIXsr10test_utilsE35device_test_enabled_for_warp_size_vIXT1_EEEvE4typeEPT_S4_
		.amdhsa_group_segment_fixed_size 120
		.amdhsa_private_segment_fixed_size 0
		.amdhsa_kernarg_size 272
		.amdhsa_user_sgpr_count 6
		.amdhsa_user_sgpr_private_segment_buffer 1
		.amdhsa_user_sgpr_dispatch_ptr 0
		.amdhsa_user_sgpr_queue_ptr 0
		.amdhsa_user_sgpr_kernarg_segment_ptr 1
		.amdhsa_user_sgpr_dispatch_id 0
		.amdhsa_user_sgpr_flat_scratch_init 0
		.amdhsa_user_sgpr_kernarg_preload_length 0
		.amdhsa_user_sgpr_kernarg_preload_offset 0
		.amdhsa_user_sgpr_private_segment_size 0
		.amdhsa_uses_dynamic_stack 0
		.amdhsa_system_sgpr_private_segment_wavefront_offset 0
		.amdhsa_system_sgpr_workgroup_id_x 1
		.amdhsa_system_sgpr_workgroup_id_y 0
		.amdhsa_system_sgpr_workgroup_id_z 0
		.amdhsa_system_sgpr_workgroup_info 0
		.amdhsa_system_vgpr_workitem_id 0
		.amdhsa_next_free_vgpr 8
		.amdhsa_next_free_sgpr 8
		.amdhsa_accum_offset 8
		.amdhsa_reserve_vcc 1
		.amdhsa_reserve_flat_scratch 0
		.amdhsa_float_round_mode_32 0
		.amdhsa_float_round_mode_16_64 0
		.amdhsa_float_denorm_mode_32 3
		.amdhsa_float_denorm_mode_16_64 3
		.amdhsa_dx10_clamp 1
		.amdhsa_ieee_mode 1
		.amdhsa_fp16_overflow 0
		.amdhsa_tg_split 0
		.amdhsa_exception_fp_ieee_invalid_op 0
		.amdhsa_exception_fp_denorm_src 0
		.amdhsa_exception_fp_ieee_div_zero 0
		.amdhsa_exception_fp_ieee_overflow 0
		.amdhsa_exception_fp_ieee_underflow 0
		.amdhsa_exception_fp_ieee_inexact 0
		.amdhsa_exception_int_div_zero 0
	.end_amdhsa_kernel
	.section	.text._Z18warp_reduce_kernelIiLj30ELj15EENSt9enable_ifIXsr10test_utilsE35device_test_enabled_for_warp_size_vIXT1_EEEvE4typeEPT_S4_,"axG",@progbits,_Z18warp_reduce_kernelIiLj30ELj15EENSt9enable_ifIXsr10test_utilsE35device_test_enabled_for_warp_size_vIXT1_EEEvE4typeEPT_S4_,comdat
.Lfunc_end14:
	.size	_Z18warp_reduce_kernelIiLj30ELj15EENSt9enable_ifIXsr10test_utilsE35device_test_enabled_for_warp_size_vIXT1_EEEvE4typeEPT_S4_, .Lfunc_end14-_Z18warp_reduce_kernelIiLj30ELj15EENSt9enable_ifIXsr10test_utilsE35device_test_enabled_for_warp_size_vIXT1_EEEvE4typeEPT_S4_
                                        ; -- End function
	.section	.AMDGPU.csdata,"",@progbits
; Kernel info:
; codeLenInByte = 424
; NumSgprs: 12
; NumVgprs: 8
; NumAgprs: 0
; TotalNumVgprs: 8
; ScratchSize: 0
; MemoryBound: 0
; FloatMode: 240
; IeeeMode: 1
; LDSByteSize: 120 bytes/workgroup (compile time only)
; SGPRBlocks: 1
; VGPRBlocks: 0
; NumSGPRsForWavesPerEU: 12
; NumVGPRsForWavesPerEU: 8
; AccumOffset: 8
; Occupancy: 8
; WaveLimiterHint : 0
; COMPUTE_PGM_RSRC2:SCRATCH_EN: 0
; COMPUTE_PGM_RSRC2:USER_SGPR: 6
; COMPUTE_PGM_RSRC2:TRAP_HANDLER: 0
; COMPUTE_PGM_RSRC2:TGID_X_EN: 1
; COMPUTE_PGM_RSRC2:TGID_Y_EN: 0
; COMPUTE_PGM_RSRC2:TGID_Z_EN: 0
; COMPUTE_PGM_RSRC2:TIDIG_COMP_CNT: 0
; COMPUTE_PGM_RSRC3_GFX90A:ACCUM_OFFSET: 1
; COMPUTE_PGM_RSRC3_GFX90A:TG_SPLIT: 0
	.section	.text._Z18warp_reduce_kernelIiLj60ELj15EENSt9enable_ifIXsr10test_utilsE35device_test_enabled_for_warp_size_vIXT1_EEEvE4typeEPT_S4_,"axG",@progbits,_Z18warp_reduce_kernelIiLj60ELj15EENSt9enable_ifIXsr10test_utilsE35device_test_enabled_for_warp_size_vIXT1_EEEvE4typeEPT_S4_,comdat
	.protected	_Z18warp_reduce_kernelIiLj60ELj15EENSt9enable_ifIXsr10test_utilsE35device_test_enabled_for_warp_size_vIXT1_EEEvE4typeEPT_S4_ ; -- Begin function _Z18warp_reduce_kernelIiLj60ELj15EENSt9enable_ifIXsr10test_utilsE35device_test_enabled_for_warp_size_vIXT1_EEEvE4typeEPT_S4_
	.globl	_Z18warp_reduce_kernelIiLj60ELj15EENSt9enable_ifIXsr10test_utilsE35device_test_enabled_for_warp_size_vIXT1_EEEvE4typeEPT_S4_
	.p2align	8
	.type	_Z18warp_reduce_kernelIiLj60ELj15EENSt9enable_ifIXsr10test_utilsE35device_test_enabled_for_warp_size_vIXT1_EEEvE4typeEPT_S4_,@function
_Z18warp_reduce_kernelIiLj60ELj15EENSt9enable_ifIXsr10test_utilsE35device_test_enabled_for_warp_size_vIXT1_EEEvE4typeEPT_S4_: ; @_Z18warp_reduce_kernelIiLj60ELj15EENSt9enable_ifIXsr10test_utilsE35device_test_enabled_for_warp_size_vIXT1_EEEvE4typeEPT_S4_
; %bb.0:
	s_load_dword s7, s[4:5], 0x1c
	s_load_dwordx4 s[0:3], s[4:5], 0x0
	v_mov_b32_e32 v3, 0
	s_waitcnt lgkmcnt(0)
	s_and_b32 s4, s7, 0xffff
	s_mul_i32 s6, s6, s4
	v_add_u32_e32 v2, s6, v0
	v_lshlrev_b64 v[4:5], 2, v[2:3]
	v_mov_b32_e32 v1, s1
	v_add_co_u32_e32 v4, vcc, s0, v4
	v_addc_co_u32_e32 v5, vcc, v1, v5, vcc
	global_load_dword v1, v[4:5], off
	v_mbcnt_lo_u32_b32 v3, -1, 0
	s_mov_b32 s0, 0x11111112
	v_mul_u32_u24_e32 v4, 0x1112, v0
	v_mbcnt_hi_u32_b32 v5, -1, v3
	v_lshrrev_b32_e32 v3, 16, v4
	v_mul_hi_u32 v4, v5, s0
	v_mul_u32_u24_e32 v4, 15, v4
	v_sub_u32_e32 v5, v5, v4
	v_lshlrev_b32_e32 v4, 2, v5
	v_mad_u32_u24 v4, v3, 60, v4
	v_cmp_gt_u32_e32 vcc, 7, v5
	s_waitcnt vmcnt(0)
	ds_write_b32 v4, v1
	; wave barrier
	s_and_saveexec_b64 s[0:1], vcc
	s_cbranch_execz .LBB15_2
; %bb.1:
	ds_read2_b32 v[6:7], v4 offset1:8
	s_waitcnt lgkmcnt(0)
	v_add_u32_e32 v1, v7, v6
.LBB15_2:
	s_or_b64 exec, exec, s[0:1]
	; wave barrier
	s_and_saveexec_b64 s[0:1], vcc
	s_cbranch_execz .LBB15_4
; %bb.3:
	ds_write_b32 v4, v1
.LBB15_4:
	s_or_b64 exec, exec, s[0:1]
	v_cmp_gt_u32_e32 vcc, 4, v5
	; wave barrier
	s_and_saveexec_b64 s[0:1], vcc
	s_cbranch_execz .LBB15_6
; %bb.5:
	ds_read2_b32 v[6:7], v4 offset1:4
	s_waitcnt lgkmcnt(0)
	v_add_u32_e32 v1, v7, v6
.LBB15_6:
	s_or_b64 exec, exec, s[0:1]
	; wave barrier
	s_and_saveexec_b64 s[0:1], vcc
	s_cbranch_execz .LBB15_8
; %bb.7:
	ds_write_b32 v4, v1
.LBB15_8:
	s_or_b64 exec, exec, s[0:1]
	v_cmp_gt_u32_e32 vcc, 2, v5
	; wave barrier
	s_and_saveexec_b64 s[0:1], vcc
	s_cbranch_execz .LBB15_10
; %bb.9:
	ds_read2_b32 v[6:7], v4 offset1:2
	s_waitcnt lgkmcnt(0)
	v_add_u32_e32 v1, v7, v6
.LBB15_10:
	s_or_b64 exec, exec, s[0:1]
	; wave barrier
	s_and_saveexec_b64 s[0:1], vcc
	s_cbranch_execz .LBB15_12
; %bb.11:
	ds_write_b32 v4, v1
.LBB15_12:
	s_or_b64 exec, exec, s[0:1]
	v_cmp_eq_u32_e32 vcc, 0, v5
	; wave barrier
	s_and_saveexec_b64 s[0:1], vcc
	s_cbranch_execz .LBB15_14
; %bb.13:
	v_mul_u32_u24_e32 v1, 60, v3
	ds_read_b32 v5, v4
	ds_read_b32 v1, v1 offset:4
	s_waitcnt lgkmcnt(0)
	v_add_u32_e32 v1, v1, v5
.LBB15_14:
	s_or_b64 exec, exec, s[0:1]
	; wave barrier
	s_and_saveexec_b64 s[0:1], vcc
	s_cbranch_execz .LBB15_16
; %bb.15:
	ds_write_b32 v4, v1
.LBB15_16:
	s_or_b64 exec, exec, s[0:1]
	v_mul_lo_u16_e32 v3, 15, v3
	v_sub_u16_e32 v0, v0, v3
	v_cmp_eq_u16_e32 vcc, 0, v0
	; wave barrier
	s_and_saveexec_b64 s[0:1], vcc
	s_cbranch_execz .LBB15_18
; %bb.17:
	s_mov_b32 s0, 0x88888889
	v_mul_hi_u32 v0, v2, s0
	v_lshrrev_b32_e32 v0, 1, v0
	v_and_b32_e32 v0, 0x7ffffffc, v0
	global_store_dword v0, v1, s[2:3]
.LBB15_18:
	s_endpgm
	.section	.rodata,"a",@progbits
	.p2align	6, 0x0
	.amdhsa_kernel _Z18warp_reduce_kernelIiLj60ELj15EENSt9enable_ifIXsr10test_utilsE35device_test_enabled_for_warp_size_vIXT1_EEEvE4typeEPT_S4_
		.amdhsa_group_segment_fixed_size 240
		.amdhsa_private_segment_fixed_size 0
		.amdhsa_kernarg_size 272
		.amdhsa_user_sgpr_count 6
		.amdhsa_user_sgpr_private_segment_buffer 1
		.amdhsa_user_sgpr_dispatch_ptr 0
		.amdhsa_user_sgpr_queue_ptr 0
		.amdhsa_user_sgpr_kernarg_segment_ptr 1
		.amdhsa_user_sgpr_dispatch_id 0
		.amdhsa_user_sgpr_flat_scratch_init 0
		.amdhsa_user_sgpr_kernarg_preload_length 0
		.amdhsa_user_sgpr_kernarg_preload_offset 0
		.amdhsa_user_sgpr_private_segment_size 0
		.amdhsa_uses_dynamic_stack 0
		.amdhsa_system_sgpr_private_segment_wavefront_offset 0
		.amdhsa_system_sgpr_workgroup_id_x 1
		.amdhsa_system_sgpr_workgroup_id_y 0
		.amdhsa_system_sgpr_workgroup_id_z 0
		.amdhsa_system_sgpr_workgroup_info 0
		.amdhsa_system_vgpr_workitem_id 0
		.amdhsa_next_free_vgpr 8
		.amdhsa_next_free_sgpr 8
		.amdhsa_accum_offset 8
		.amdhsa_reserve_vcc 1
		.amdhsa_reserve_flat_scratch 0
		.amdhsa_float_round_mode_32 0
		.amdhsa_float_round_mode_16_64 0
		.amdhsa_float_denorm_mode_32 3
		.amdhsa_float_denorm_mode_16_64 3
		.amdhsa_dx10_clamp 1
		.amdhsa_ieee_mode 1
		.amdhsa_fp16_overflow 0
		.amdhsa_tg_split 0
		.amdhsa_exception_fp_ieee_invalid_op 0
		.amdhsa_exception_fp_denorm_src 0
		.amdhsa_exception_fp_ieee_div_zero 0
		.amdhsa_exception_fp_ieee_overflow 0
		.amdhsa_exception_fp_ieee_underflow 0
		.amdhsa_exception_fp_ieee_inexact 0
		.amdhsa_exception_int_div_zero 0
	.end_amdhsa_kernel
	.section	.text._Z18warp_reduce_kernelIiLj60ELj15EENSt9enable_ifIXsr10test_utilsE35device_test_enabled_for_warp_size_vIXT1_EEEvE4typeEPT_S4_,"axG",@progbits,_Z18warp_reduce_kernelIiLj60ELj15EENSt9enable_ifIXsr10test_utilsE35device_test_enabled_for_warp_size_vIXT1_EEEvE4typeEPT_S4_,comdat
.Lfunc_end15:
	.size	_Z18warp_reduce_kernelIiLj60ELj15EENSt9enable_ifIXsr10test_utilsE35device_test_enabled_for_warp_size_vIXT1_EEEvE4typeEPT_S4_, .Lfunc_end15-_Z18warp_reduce_kernelIiLj60ELj15EENSt9enable_ifIXsr10test_utilsE35device_test_enabled_for_warp_size_vIXT1_EEEvE4typeEPT_S4_
                                        ; -- End function
	.section	.AMDGPU.csdata,"",@progbits
; Kernel info:
; codeLenInByte = 424
; NumSgprs: 12
; NumVgprs: 8
; NumAgprs: 0
; TotalNumVgprs: 8
; ScratchSize: 0
; MemoryBound: 0
; FloatMode: 240
; IeeeMode: 1
; LDSByteSize: 240 bytes/workgroup (compile time only)
; SGPRBlocks: 1
; VGPRBlocks: 0
; NumSGPRsForWavesPerEU: 12
; NumVGPRsForWavesPerEU: 8
; AccumOffset: 8
; Occupancy: 8
; WaveLimiterHint : 0
; COMPUTE_PGM_RSRC2:SCRATCH_EN: 0
; COMPUTE_PGM_RSRC2:USER_SGPR: 6
; COMPUTE_PGM_RSRC2:TRAP_HANDLER: 0
; COMPUTE_PGM_RSRC2:TGID_X_EN: 1
; COMPUTE_PGM_RSRC2:TGID_Y_EN: 0
; COMPUTE_PGM_RSRC2:TGID_Z_EN: 0
; COMPUTE_PGM_RSRC2:TIDIG_COMP_CNT: 0
; COMPUTE_PGM_RSRC3_GFX90A:ACCUM_OFFSET: 1
; COMPUTE_PGM_RSRC3_GFX90A:TG_SPLIT: 0
	.section	.text._Z18warp_reduce_kernelIiLj28ELj7EENSt9enable_ifIXsr10test_utilsE35device_test_enabled_for_warp_size_vIXT1_EEEvE4typeEPT_S4_,"axG",@progbits,_Z18warp_reduce_kernelIiLj28ELj7EENSt9enable_ifIXsr10test_utilsE35device_test_enabled_for_warp_size_vIXT1_EEEvE4typeEPT_S4_,comdat
	.protected	_Z18warp_reduce_kernelIiLj28ELj7EENSt9enable_ifIXsr10test_utilsE35device_test_enabled_for_warp_size_vIXT1_EEEvE4typeEPT_S4_ ; -- Begin function _Z18warp_reduce_kernelIiLj28ELj7EENSt9enable_ifIXsr10test_utilsE35device_test_enabled_for_warp_size_vIXT1_EEEvE4typeEPT_S4_
	.globl	_Z18warp_reduce_kernelIiLj28ELj7EENSt9enable_ifIXsr10test_utilsE35device_test_enabled_for_warp_size_vIXT1_EEEvE4typeEPT_S4_
	.p2align	8
	.type	_Z18warp_reduce_kernelIiLj28ELj7EENSt9enable_ifIXsr10test_utilsE35device_test_enabled_for_warp_size_vIXT1_EEEvE4typeEPT_S4_,@function
_Z18warp_reduce_kernelIiLj28ELj7EENSt9enable_ifIXsr10test_utilsE35device_test_enabled_for_warp_size_vIXT1_EEEvE4typeEPT_S4_: ; @_Z18warp_reduce_kernelIiLj28ELj7EENSt9enable_ifIXsr10test_utilsE35device_test_enabled_for_warp_size_vIXT1_EEEvE4typeEPT_S4_
; %bb.0:
	s_load_dword s7, s[4:5], 0x1c
	s_load_dwordx4 s[0:3], s[4:5], 0x0
	v_mov_b32_e32 v3, 0
	s_waitcnt lgkmcnt(0)
	s_and_b32 s4, s7, 0xffff
	s_mul_i32 s6, s6, s4
	v_add_u32_e32 v2, s6, v0
	v_lshlrev_b64 v[4:5], 2, v[2:3]
	v_mov_b32_e32 v1, s1
	v_add_co_u32_e32 v4, vcc, s0, v4
	v_addc_co_u32_e32 v5, vcc, v1, v5, vcc
	global_load_dword v1, v[4:5], off
	v_mbcnt_lo_u32_b32 v3, -1, 0
	s_mov_b32 s0, 0x24924925
	v_mul_u32_u24_e32 v4, 0x2493, v0
	v_mbcnt_hi_u32_b32 v5, -1, v3
	v_lshrrev_b32_e32 v3, 16, v4
	v_mul_hi_u32 v4, v5, s0
	v_mul_u32_u24_e32 v4, 7, v4
	v_sub_u32_e32 v5, v5, v4
	v_lshlrev_b32_e32 v4, 2, v5
	v_mad_u32_u24 v4, v3, 28, v4
	v_cmp_gt_u32_e32 vcc, 3, v5
	s_waitcnt vmcnt(0)
	ds_write_b32 v4, v1
	; wave barrier
	s_and_saveexec_b64 s[0:1], vcc
	s_cbranch_execz .LBB16_2
; %bb.1:
	ds_read2_b32 v[6:7], v4 offset1:4
	s_waitcnt lgkmcnt(0)
	v_add_u32_e32 v1, v7, v6
.LBB16_2:
	s_or_b64 exec, exec, s[0:1]
	; wave barrier
	s_and_saveexec_b64 s[0:1], vcc
	s_cbranch_execz .LBB16_4
; %bb.3:
	ds_write_b32 v4, v1
.LBB16_4:
	s_or_b64 exec, exec, s[0:1]
	v_cmp_gt_u32_e32 vcc, 2, v5
	; wave barrier
	s_and_saveexec_b64 s[0:1], vcc
	s_cbranch_execz .LBB16_6
; %bb.5:
	ds_read2_b32 v[6:7], v4 offset1:2
	s_waitcnt lgkmcnt(0)
	v_add_u32_e32 v1, v7, v6
.LBB16_6:
	s_or_b64 exec, exec, s[0:1]
	; wave barrier
	s_and_saveexec_b64 s[0:1], vcc
	s_cbranch_execz .LBB16_8
; %bb.7:
	ds_write_b32 v4, v1
.LBB16_8:
	s_or_b64 exec, exec, s[0:1]
	v_cmp_eq_u32_e32 vcc, 0, v5
	; wave barrier
	s_and_saveexec_b64 s[0:1], vcc
	s_cbranch_execz .LBB16_10
; %bb.9:
	v_mul_u32_u24_e32 v1, 28, v3
	ds_read_b32 v5, v4
	ds_read_b32 v1, v1 offset:4
	s_waitcnt lgkmcnt(0)
	v_add_u32_e32 v1, v1, v5
.LBB16_10:
	s_or_b64 exec, exec, s[0:1]
	; wave barrier
	s_and_saveexec_b64 s[0:1], vcc
	s_cbranch_execz .LBB16_12
; %bb.11:
	ds_write_b32 v4, v1
.LBB16_12:
	s_or_b64 exec, exec, s[0:1]
	v_mul_lo_u16_e32 v3, 7, v3
	v_sub_u16_e32 v0, v0, v3
	v_cmp_eq_u16_e32 vcc, 0, v0
	; wave barrier
	s_and_saveexec_b64 s[0:1], vcc
	s_cbranch_execz .LBB16_14
; %bb.13:
	s_mov_b32 s0, 0x24924925
	v_mul_hi_u32 v0, v2, s0
	v_sub_u32_e32 v2, v2, v0
	v_lshrrev_b32_e32 v2, 1, v2
	v_add_u32_e32 v0, v2, v0
	v_and_b32_e32 v0, -4, v0
	global_store_dword v0, v1, s[2:3]
.LBB16_14:
	s_endpgm
	.section	.rodata,"a",@progbits
	.p2align	6, 0x0
	.amdhsa_kernel _Z18warp_reduce_kernelIiLj28ELj7EENSt9enable_ifIXsr10test_utilsE35device_test_enabled_for_warp_size_vIXT1_EEEvE4typeEPT_S4_
		.amdhsa_group_segment_fixed_size 112
		.amdhsa_private_segment_fixed_size 0
		.amdhsa_kernarg_size 272
		.amdhsa_user_sgpr_count 6
		.amdhsa_user_sgpr_private_segment_buffer 1
		.amdhsa_user_sgpr_dispatch_ptr 0
		.amdhsa_user_sgpr_queue_ptr 0
		.amdhsa_user_sgpr_kernarg_segment_ptr 1
		.amdhsa_user_sgpr_dispatch_id 0
		.amdhsa_user_sgpr_flat_scratch_init 0
		.amdhsa_user_sgpr_kernarg_preload_length 0
		.amdhsa_user_sgpr_kernarg_preload_offset 0
		.amdhsa_user_sgpr_private_segment_size 0
		.amdhsa_uses_dynamic_stack 0
		.amdhsa_system_sgpr_private_segment_wavefront_offset 0
		.amdhsa_system_sgpr_workgroup_id_x 1
		.amdhsa_system_sgpr_workgroup_id_y 0
		.amdhsa_system_sgpr_workgroup_id_z 0
		.amdhsa_system_sgpr_workgroup_info 0
		.amdhsa_system_vgpr_workitem_id 0
		.amdhsa_next_free_vgpr 8
		.amdhsa_next_free_sgpr 8
		.amdhsa_accum_offset 8
		.amdhsa_reserve_vcc 1
		.amdhsa_reserve_flat_scratch 0
		.amdhsa_float_round_mode_32 0
		.amdhsa_float_round_mode_16_64 0
		.amdhsa_float_denorm_mode_32 3
		.amdhsa_float_denorm_mode_16_64 3
		.amdhsa_dx10_clamp 1
		.amdhsa_ieee_mode 1
		.amdhsa_fp16_overflow 0
		.amdhsa_tg_split 0
		.amdhsa_exception_fp_ieee_invalid_op 0
		.amdhsa_exception_fp_denorm_src 0
		.amdhsa_exception_fp_ieee_div_zero 0
		.amdhsa_exception_fp_ieee_overflow 0
		.amdhsa_exception_fp_ieee_underflow 0
		.amdhsa_exception_fp_ieee_inexact 0
		.amdhsa_exception_int_div_zero 0
	.end_amdhsa_kernel
	.section	.text._Z18warp_reduce_kernelIiLj28ELj7EENSt9enable_ifIXsr10test_utilsE35device_test_enabled_for_warp_size_vIXT1_EEEvE4typeEPT_S4_,"axG",@progbits,_Z18warp_reduce_kernelIiLj28ELj7EENSt9enable_ifIXsr10test_utilsE35device_test_enabled_for_warp_size_vIXT1_EEEvE4typeEPT_S4_,comdat
.Lfunc_end16:
	.size	_Z18warp_reduce_kernelIiLj28ELj7EENSt9enable_ifIXsr10test_utilsE35device_test_enabled_for_warp_size_vIXT1_EEEvE4typeEPT_S4_, .Lfunc_end16-_Z18warp_reduce_kernelIiLj28ELj7EENSt9enable_ifIXsr10test_utilsE35device_test_enabled_for_warp_size_vIXT1_EEEvE4typeEPT_S4_
                                        ; -- End function
	.section	.AMDGPU.csdata,"",@progbits
; Kernel info:
; codeLenInByte = 376
; NumSgprs: 12
; NumVgprs: 8
; NumAgprs: 0
; TotalNumVgprs: 8
; ScratchSize: 0
; MemoryBound: 0
; FloatMode: 240
; IeeeMode: 1
; LDSByteSize: 112 bytes/workgroup (compile time only)
; SGPRBlocks: 1
; VGPRBlocks: 0
; NumSGPRsForWavesPerEU: 12
; NumVGPRsForWavesPerEU: 8
; AccumOffset: 8
; Occupancy: 8
; WaveLimiterHint : 0
; COMPUTE_PGM_RSRC2:SCRATCH_EN: 0
; COMPUTE_PGM_RSRC2:USER_SGPR: 6
; COMPUTE_PGM_RSRC2:TRAP_HANDLER: 0
; COMPUTE_PGM_RSRC2:TGID_X_EN: 1
; COMPUTE_PGM_RSRC2:TGID_Y_EN: 0
; COMPUTE_PGM_RSRC2:TGID_Z_EN: 0
; COMPUTE_PGM_RSRC2:TIDIG_COMP_CNT: 0
; COMPUTE_PGM_RSRC3_GFX90A:ACCUM_OFFSET: 1
; COMPUTE_PGM_RSRC3_GFX90A:TG_SPLIT: 0
	.section	.text._Z18warp_reduce_kernelIiLj63ELj7EENSt9enable_ifIXsr10test_utilsE35device_test_enabled_for_warp_size_vIXT1_EEEvE4typeEPT_S4_,"axG",@progbits,_Z18warp_reduce_kernelIiLj63ELj7EENSt9enable_ifIXsr10test_utilsE35device_test_enabled_for_warp_size_vIXT1_EEEvE4typeEPT_S4_,comdat
	.protected	_Z18warp_reduce_kernelIiLj63ELj7EENSt9enable_ifIXsr10test_utilsE35device_test_enabled_for_warp_size_vIXT1_EEEvE4typeEPT_S4_ ; -- Begin function _Z18warp_reduce_kernelIiLj63ELj7EENSt9enable_ifIXsr10test_utilsE35device_test_enabled_for_warp_size_vIXT1_EEEvE4typeEPT_S4_
	.globl	_Z18warp_reduce_kernelIiLj63ELj7EENSt9enable_ifIXsr10test_utilsE35device_test_enabled_for_warp_size_vIXT1_EEEvE4typeEPT_S4_
	.p2align	8
	.type	_Z18warp_reduce_kernelIiLj63ELj7EENSt9enable_ifIXsr10test_utilsE35device_test_enabled_for_warp_size_vIXT1_EEEvE4typeEPT_S4_,@function
_Z18warp_reduce_kernelIiLj63ELj7EENSt9enable_ifIXsr10test_utilsE35device_test_enabled_for_warp_size_vIXT1_EEEvE4typeEPT_S4_: ; @_Z18warp_reduce_kernelIiLj63ELj7EENSt9enable_ifIXsr10test_utilsE35device_test_enabled_for_warp_size_vIXT1_EEEvE4typeEPT_S4_
; %bb.0:
	s_load_dword s7, s[4:5], 0x1c
	s_load_dwordx4 s[0:3], s[4:5], 0x0
	v_mov_b32_e32 v3, 0
	s_waitcnt lgkmcnt(0)
	s_and_b32 s4, s7, 0xffff
	s_mul_i32 s6, s6, s4
	v_add_u32_e32 v2, s6, v0
	v_lshlrev_b64 v[4:5], 2, v[2:3]
	v_mov_b32_e32 v1, s1
	v_add_co_u32_e32 v4, vcc, s0, v4
	v_addc_co_u32_e32 v5, vcc, v1, v5, vcc
	global_load_dword v1, v[4:5], off
	v_mbcnt_lo_u32_b32 v3, -1, 0
	s_mov_b32 s0, 0x24924925
	v_mul_u32_u24_e32 v4, 0x2493, v0
	v_mbcnt_hi_u32_b32 v5, -1, v3
	v_lshrrev_b32_e32 v3, 16, v4
	v_mul_hi_u32 v4, v5, s0
	v_mul_u32_u24_e32 v4, 7, v4
	v_sub_u32_e32 v5, v5, v4
	v_lshlrev_b32_e32 v4, 2, v5
	v_mad_u32_u24 v4, v3, 28, v4
	v_cmp_gt_u32_e32 vcc, 3, v5
	s_waitcnt vmcnt(0)
	ds_write_b32 v4, v1
	; wave barrier
	s_and_saveexec_b64 s[0:1], vcc
	s_cbranch_execz .LBB17_2
; %bb.1:
	ds_read2_b32 v[6:7], v4 offset1:4
	s_waitcnt lgkmcnt(0)
	v_add_u32_e32 v1, v7, v6
.LBB17_2:
	s_or_b64 exec, exec, s[0:1]
	; wave barrier
	s_and_saveexec_b64 s[0:1], vcc
	s_cbranch_execz .LBB17_4
; %bb.3:
	ds_write_b32 v4, v1
.LBB17_4:
	s_or_b64 exec, exec, s[0:1]
	v_cmp_gt_u32_e32 vcc, 2, v5
	; wave barrier
	s_and_saveexec_b64 s[0:1], vcc
	s_cbranch_execz .LBB17_6
; %bb.5:
	ds_read2_b32 v[6:7], v4 offset1:2
	s_waitcnt lgkmcnt(0)
	v_add_u32_e32 v1, v7, v6
.LBB17_6:
	s_or_b64 exec, exec, s[0:1]
	; wave barrier
	s_and_saveexec_b64 s[0:1], vcc
	s_cbranch_execz .LBB17_8
; %bb.7:
	ds_write_b32 v4, v1
.LBB17_8:
	s_or_b64 exec, exec, s[0:1]
	v_cmp_eq_u32_e32 vcc, 0, v5
	; wave barrier
	s_and_saveexec_b64 s[0:1], vcc
	s_cbranch_execz .LBB17_10
; %bb.9:
	v_mul_u32_u24_e32 v1, 28, v3
	ds_read_b32 v5, v4
	ds_read_b32 v1, v1 offset:4
	s_waitcnt lgkmcnt(0)
	v_add_u32_e32 v1, v1, v5
.LBB17_10:
	s_or_b64 exec, exec, s[0:1]
	; wave barrier
	s_and_saveexec_b64 s[0:1], vcc
	s_cbranch_execz .LBB17_12
; %bb.11:
	ds_write_b32 v4, v1
.LBB17_12:
	s_or_b64 exec, exec, s[0:1]
	v_mul_lo_u16_e32 v3, 7, v3
	v_sub_u16_e32 v0, v0, v3
	v_cmp_eq_u16_e32 vcc, 0, v0
	; wave barrier
	s_and_saveexec_b64 s[0:1], vcc
	s_cbranch_execz .LBB17_14
; %bb.13:
	s_mov_b32 s0, 0x24924925
	v_mul_hi_u32 v0, v2, s0
	v_sub_u32_e32 v2, v2, v0
	v_lshrrev_b32_e32 v2, 1, v2
	v_add_u32_e32 v0, v2, v0
	v_and_b32_e32 v0, -4, v0
	global_store_dword v0, v1, s[2:3]
.LBB17_14:
	s_endpgm
	.section	.rodata,"a",@progbits
	.p2align	6, 0x0
	.amdhsa_kernel _Z18warp_reduce_kernelIiLj63ELj7EENSt9enable_ifIXsr10test_utilsE35device_test_enabled_for_warp_size_vIXT1_EEEvE4typeEPT_S4_
		.amdhsa_group_segment_fixed_size 252
		.amdhsa_private_segment_fixed_size 0
		.amdhsa_kernarg_size 272
		.amdhsa_user_sgpr_count 6
		.amdhsa_user_sgpr_private_segment_buffer 1
		.amdhsa_user_sgpr_dispatch_ptr 0
		.amdhsa_user_sgpr_queue_ptr 0
		.amdhsa_user_sgpr_kernarg_segment_ptr 1
		.amdhsa_user_sgpr_dispatch_id 0
		.amdhsa_user_sgpr_flat_scratch_init 0
		.amdhsa_user_sgpr_kernarg_preload_length 0
		.amdhsa_user_sgpr_kernarg_preload_offset 0
		.amdhsa_user_sgpr_private_segment_size 0
		.amdhsa_uses_dynamic_stack 0
		.amdhsa_system_sgpr_private_segment_wavefront_offset 0
		.amdhsa_system_sgpr_workgroup_id_x 1
		.amdhsa_system_sgpr_workgroup_id_y 0
		.amdhsa_system_sgpr_workgroup_id_z 0
		.amdhsa_system_sgpr_workgroup_info 0
		.amdhsa_system_vgpr_workitem_id 0
		.amdhsa_next_free_vgpr 8
		.amdhsa_next_free_sgpr 8
		.amdhsa_accum_offset 8
		.amdhsa_reserve_vcc 1
		.amdhsa_reserve_flat_scratch 0
		.amdhsa_float_round_mode_32 0
		.amdhsa_float_round_mode_16_64 0
		.amdhsa_float_denorm_mode_32 3
		.amdhsa_float_denorm_mode_16_64 3
		.amdhsa_dx10_clamp 1
		.amdhsa_ieee_mode 1
		.amdhsa_fp16_overflow 0
		.amdhsa_tg_split 0
		.amdhsa_exception_fp_ieee_invalid_op 0
		.amdhsa_exception_fp_denorm_src 0
		.amdhsa_exception_fp_ieee_div_zero 0
		.amdhsa_exception_fp_ieee_overflow 0
		.amdhsa_exception_fp_ieee_underflow 0
		.amdhsa_exception_fp_ieee_inexact 0
		.amdhsa_exception_int_div_zero 0
	.end_amdhsa_kernel
	.section	.text._Z18warp_reduce_kernelIiLj63ELj7EENSt9enable_ifIXsr10test_utilsE35device_test_enabled_for_warp_size_vIXT1_EEEvE4typeEPT_S4_,"axG",@progbits,_Z18warp_reduce_kernelIiLj63ELj7EENSt9enable_ifIXsr10test_utilsE35device_test_enabled_for_warp_size_vIXT1_EEEvE4typeEPT_S4_,comdat
.Lfunc_end17:
	.size	_Z18warp_reduce_kernelIiLj63ELj7EENSt9enable_ifIXsr10test_utilsE35device_test_enabled_for_warp_size_vIXT1_EEEvE4typeEPT_S4_, .Lfunc_end17-_Z18warp_reduce_kernelIiLj63ELj7EENSt9enable_ifIXsr10test_utilsE35device_test_enabled_for_warp_size_vIXT1_EEEvE4typeEPT_S4_
                                        ; -- End function
	.section	.AMDGPU.csdata,"",@progbits
; Kernel info:
; codeLenInByte = 376
; NumSgprs: 12
; NumVgprs: 8
; NumAgprs: 0
; TotalNumVgprs: 8
; ScratchSize: 0
; MemoryBound: 0
; FloatMode: 240
; IeeeMode: 1
; LDSByteSize: 252 bytes/workgroup (compile time only)
; SGPRBlocks: 1
; VGPRBlocks: 0
; NumSGPRsForWavesPerEU: 12
; NumVGPRsForWavesPerEU: 8
; AccumOffset: 8
; Occupancy: 8
; WaveLimiterHint : 0
; COMPUTE_PGM_RSRC2:SCRATCH_EN: 0
; COMPUTE_PGM_RSRC2:USER_SGPR: 6
; COMPUTE_PGM_RSRC2:TRAP_HANDLER: 0
; COMPUTE_PGM_RSRC2:TGID_X_EN: 1
; COMPUTE_PGM_RSRC2:TGID_Y_EN: 0
; COMPUTE_PGM_RSRC2:TGID_Z_EN: 0
; COMPUTE_PGM_RSRC2:TIDIG_COMP_CNT: 0
; COMPUTE_PGM_RSRC3_GFX90A:ACCUM_OFFSET: 1
; COMPUTE_PGM_RSRC3_GFX90A:TG_SPLIT: 0
	.section	.text._Z18warp_reduce_kernelIiLj30ELj3EENSt9enable_ifIXsr10test_utilsE35device_test_enabled_for_warp_size_vIXT1_EEEvE4typeEPT_S4_,"axG",@progbits,_Z18warp_reduce_kernelIiLj30ELj3EENSt9enable_ifIXsr10test_utilsE35device_test_enabled_for_warp_size_vIXT1_EEEvE4typeEPT_S4_,comdat
	.protected	_Z18warp_reduce_kernelIiLj30ELj3EENSt9enable_ifIXsr10test_utilsE35device_test_enabled_for_warp_size_vIXT1_EEEvE4typeEPT_S4_ ; -- Begin function _Z18warp_reduce_kernelIiLj30ELj3EENSt9enable_ifIXsr10test_utilsE35device_test_enabled_for_warp_size_vIXT1_EEEvE4typeEPT_S4_
	.globl	_Z18warp_reduce_kernelIiLj30ELj3EENSt9enable_ifIXsr10test_utilsE35device_test_enabled_for_warp_size_vIXT1_EEEvE4typeEPT_S4_
	.p2align	8
	.type	_Z18warp_reduce_kernelIiLj30ELj3EENSt9enable_ifIXsr10test_utilsE35device_test_enabled_for_warp_size_vIXT1_EEEvE4typeEPT_S4_,@function
_Z18warp_reduce_kernelIiLj30ELj3EENSt9enable_ifIXsr10test_utilsE35device_test_enabled_for_warp_size_vIXT1_EEEvE4typeEPT_S4_: ; @_Z18warp_reduce_kernelIiLj30ELj3EENSt9enable_ifIXsr10test_utilsE35device_test_enabled_for_warp_size_vIXT1_EEEvE4typeEPT_S4_
; %bb.0:
	s_load_dword s7, s[4:5], 0x1c
	s_load_dwordx4 s[0:3], s[4:5], 0x0
	v_mov_b32_e32 v3, 0
	s_waitcnt lgkmcnt(0)
	s_and_b32 s4, s7, 0xffff
	s_mul_i32 s6, s6, s4
	v_add_u32_e32 v2, s6, v0
	v_lshlrev_b64 v[4:5], 2, v[2:3]
	v_mov_b32_e32 v1, s1
	v_add_co_u32_e32 v4, vcc, s0, v4
	v_addc_co_u32_e32 v5, vcc, v1, v5, vcc
	global_load_dword v1, v[4:5], off
	v_mbcnt_lo_u32_b32 v3, -1, 0
	s_mov_b32 s0, 0x55555556
	v_mul_u32_u24_e32 v4, 0x5556, v0
	v_mbcnt_hi_u32_b32 v6, -1, v3
	v_lshrrev_b32_e32 v3, 16, v4
	v_mul_hi_u32 v4, v6, s0
	v_mul_u32_u24_e32 v4, 3, v4
	v_sub_u32_e32 v6, v6, v4
	v_lshlrev_b32_e32 v4, 2, v6
	v_mul_u32_u24_e32 v5, 12, v3
	v_mad_u32_u24 v4, v3, 12, v4
	v_cmp_eq_u32_e32 vcc, 0, v6
	s_waitcnt vmcnt(0)
	ds_write_b32 v4, v1
	; wave barrier
	s_and_saveexec_b64 s[0:1], vcc
	s_cbranch_execz .LBB18_2
; %bb.1:
	ds_read_b32 v1, v4
	ds_read_b32 v6, v5 offset:8
	s_waitcnt lgkmcnt(0)
	v_add_u32_e32 v1, v6, v1
.LBB18_2:
	s_or_b64 exec, exec, s[0:1]
	; wave barrier
	s_and_saveexec_b64 s[0:1], vcc
	s_cbranch_execz .LBB18_4
; %bb.3:
	ds_write_b32 v4, v1
.LBB18_4:
	s_or_b64 exec, exec, s[0:1]
	; wave barrier
	s_and_saveexec_b64 s[0:1], vcc
	s_cbranch_execz .LBB18_6
; %bb.5:
	ds_read_b32 v1, v4
	ds_read_b32 v5, v5 offset:4
	s_waitcnt lgkmcnt(0)
	v_add_u32_e32 v1, v5, v1
.LBB18_6:
	s_or_b64 exec, exec, s[0:1]
	; wave barrier
	s_and_saveexec_b64 s[0:1], vcc
	s_cbranch_execz .LBB18_8
; %bb.7:
	ds_write_b32 v4, v1
.LBB18_8:
	s_or_b64 exec, exec, s[0:1]
	v_mul_lo_u16_e32 v3, 3, v3
	v_sub_u16_e32 v0, v0, v3
	v_cmp_eq_u16_e32 vcc, 0, v0
	; wave barrier
	s_and_saveexec_b64 s[0:1], vcc
	s_cbranch_execz .LBB18_10
; %bb.9:
	s_mov_b32 s0, 0xaaaaaaab
	v_mul_hi_u32 v0, v2, s0
	v_lshrrev_b32_e32 v2, 1, v0
	v_mov_b32_e32 v3, 0
	v_lshlrev_b64 v[2:3], 2, v[2:3]
	v_mov_b32_e32 v0, s3
	v_add_co_u32_e32 v2, vcc, s2, v2
	v_addc_co_u32_e32 v3, vcc, v0, v3, vcc
	global_store_dword v[2:3], v1, off
.LBB18_10:
	s_endpgm
	.section	.rodata,"a",@progbits
	.p2align	6, 0x0
	.amdhsa_kernel _Z18warp_reduce_kernelIiLj30ELj3EENSt9enable_ifIXsr10test_utilsE35device_test_enabled_for_warp_size_vIXT1_EEEvE4typeEPT_S4_
		.amdhsa_group_segment_fixed_size 120
		.amdhsa_private_segment_fixed_size 0
		.amdhsa_kernarg_size 272
		.amdhsa_user_sgpr_count 6
		.amdhsa_user_sgpr_private_segment_buffer 1
		.amdhsa_user_sgpr_dispatch_ptr 0
		.amdhsa_user_sgpr_queue_ptr 0
		.amdhsa_user_sgpr_kernarg_segment_ptr 1
		.amdhsa_user_sgpr_dispatch_id 0
		.amdhsa_user_sgpr_flat_scratch_init 0
		.amdhsa_user_sgpr_kernarg_preload_length 0
		.amdhsa_user_sgpr_kernarg_preload_offset 0
		.amdhsa_user_sgpr_private_segment_size 0
		.amdhsa_uses_dynamic_stack 0
		.amdhsa_system_sgpr_private_segment_wavefront_offset 0
		.amdhsa_system_sgpr_workgroup_id_x 1
		.amdhsa_system_sgpr_workgroup_id_y 0
		.amdhsa_system_sgpr_workgroup_id_z 0
		.amdhsa_system_sgpr_workgroup_info 0
		.amdhsa_system_vgpr_workitem_id 0
		.amdhsa_next_free_vgpr 7
		.amdhsa_next_free_sgpr 8
		.amdhsa_accum_offset 8
		.amdhsa_reserve_vcc 1
		.amdhsa_reserve_flat_scratch 0
		.amdhsa_float_round_mode_32 0
		.amdhsa_float_round_mode_16_64 0
		.amdhsa_float_denorm_mode_32 3
		.amdhsa_float_denorm_mode_16_64 3
		.amdhsa_dx10_clamp 1
		.amdhsa_ieee_mode 1
		.amdhsa_fp16_overflow 0
		.amdhsa_tg_split 0
		.amdhsa_exception_fp_ieee_invalid_op 0
		.amdhsa_exception_fp_denorm_src 0
		.amdhsa_exception_fp_ieee_div_zero 0
		.amdhsa_exception_fp_ieee_overflow 0
		.amdhsa_exception_fp_ieee_underflow 0
		.amdhsa_exception_fp_ieee_inexact 0
		.amdhsa_exception_int_div_zero 0
	.end_amdhsa_kernel
	.section	.text._Z18warp_reduce_kernelIiLj30ELj3EENSt9enable_ifIXsr10test_utilsE35device_test_enabled_for_warp_size_vIXT1_EEEvE4typeEPT_S4_,"axG",@progbits,_Z18warp_reduce_kernelIiLj30ELj3EENSt9enable_ifIXsr10test_utilsE35device_test_enabled_for_warp_size_vIXT1_EEEvE4typeEPT_S4_,comdat
.Lfunc_end18:
	.size	_Z18warp_reduce_kernelIiLj30ELj3EENSt9enable_ifIXsr10test_utilsE35device_test_enabled_for_warp_size_vIXT1_EEEvE4typeEPT_S4_, .Lfunc_end18-_Z18warp_reduce_kernelIiLj30ELj3EENSt9enable_ifIXsr10test_utilsE35device_test_enabled_for_warp_size_vIXT1_EEEvE4typeEPT_S4_
                                        ; -- End function
	.section	.AMDGPU.csdata,"",@progbits
; Kernel info:
; codeLenInByte = 340
; NumSgprs: 12
; NumVgprs: 7
; NumAgprs: 0
; TotalNumVgprs: 7
; ScratchSize: 0
; MemoryBound: 0
; FloatMode: 240
; IeeeMode: 1
; LDSByteSize: 120 bytes/workgroup (compile time only)
; SGPRBlocks: 1
; VGPRBlocks: 0
; NumSGPRsForWavesPerEU: 12
; NumVGPRsForWavesPerEU: 7
; AccumOffset: 8
; Occupancy: 8
; WaveLimiterHint : 0
; COMPUTE_PGM_RSRC2:SCRATCH_EN: 0
; COMPUTE_PGM_RSRC2:USER_SGPR: 6
; COMPUTE_PGM_RSRC2:TRAP_HANDLER: 0
; COMPUTE_PGM_RSRC2:TGID_X_EN: 1
; COMPUTE_PGM_RSRC2:TGID_Y_EN: 0
; COMPUTE_PGM_RSRC2:TGID_Z_EN: 0
; COMPUTE_PGM_RSRC2:TIDIG_COMP_CNT: 0
; COMPUTE_PGM_RSRC3_GFX90A:ACCUM_OFFSET: 1
; COMPUTE_PGM_RSRC3_GFX90A:TG_SPLIT: 0
	.section	.text._Z18warp_reduce_kernelIiLj63ELj3EENSt9enable_ifIXsr10test_utilsE35device_test_enabled_for_warp_size_vIXT1_EEEvE4typeEPT_S4_,"axG",@progbits,_Z18warp_reduce_kernelIiLj63ELj3EENSt9enable_ifIXsr10test_utilsE35device_test_enabled_for_warp_size_vIXT1_EEEvE4typeEPT_S4_,comdat
	.protected	_Z18warp_reduce_kernelIiLj63ELj3EENSt9enable_ifIXsr10test_utilsE35device_test_enabled_for_warp_size_vIXT1_EEEvE4typeEPT_S4_ ; -- Begin function _Z18warp_reduce_kernelIiLj63ELj3EENSt9enable_ifIXsr10test_utilsE35device_test_enabled_for_warp_size_vIXT1_EEEvE4typeEPT_S4_
	.globl	_Z18warp_reduce_kernelIiLj63ELj3EENSt9enable_ifIXsr10test_utilsE35device_test_enabled_for_warp_size_vIXT1_EEEvE4typeEPT_S4_
	.p2align	8
	.type	_Z18warp_reduce_kernelIiLj63ELj3EENSt9enable_ifIXsr10test_utilsE35device_test_enabled_for_warp_size_vIXT1_EEEvE4typeEPT_S4_,@function
_Z18warp_reduce_kernelIiLj63ELj3EENSt9enable_ifIXsr10test_utilsE35device_test_enabled_for_warp_size_vIXT1_EEEvE4typeEPT_S4_: ; @_Z18warp_reduce_kernelIiLj63ELj3EENSt9enable_ifIXsr10test_utilsE35device_test_enabled_for_warp_size_vIXT1_EEEvE4typeEPT_S4_
; %bb.0:
	s_load_dword s7, s[4:5], 0x1c
	s_load_dwordx4 s[0:3], s[4:5], 0x0
	v_mov_b32_e32 v3, 0
	s_waitcnt lgkmcnt(0)
	s_and_b32 s4, s7, 0xffff
	s_mul_i32 s6, s6, s4
	v_add_u32_e32 v2, s6, v0
	v_lshlrev_b64 v[4:5], 2, v[2:3]
	v_mov_b32_e32 v1, s1
	v_add_co_u32_e32 v4, vcc, s0, v4
	v_addc_co_u32_e32 v5, vcc, v1, v5, vcc
	global_load_dword v1, v[4:5], off
	v_mbcnt_lo_u32_b32 v3, -1, 0
	s_mov_b32 s0, 0x55555556
	v_mul_u32_u24_e32 v4, 0x5556, v0
	v_mbcnt_hi_u32_b32 v6, -1, v3
	v_lshrrev_b32_e32 v3, 16, v4
	v_mul_hi_u32 v4, v6, s0
	v_mul_u32_u24_e32 v4, 3, v4
	v_sub_u32_e32 v6, v6, v4
	v_lshlrev_b32_e32 v4, 2, v6
	v_mul_u32_u24_e32 v5, 12, v3
	v_mad_u32_u24 v4, v3, 12, v4
	v_cmp_eq_u32_e32 vcc, 0, v6
	s_waitcnt vmcnt(0)
	ds_write_b32 v4, v1
	; wave barrier
	s_and_saveexec_b64 s[0:1], vcc
	s_cbranch_execz .LBB19_2
; %bb.1:
	ds_read_b32 v1, v4
	ds_read_b32 v6, v5 offset:8
	s_waitcnt lgkmcnt(0)
	v_add_u32_e32 v1, v6, v1
.LBB19_2:
	s_or_b64 exec, exec, s[0:1]
	; wave barrier
	s_and_saveexec_b64 s[0:1], vcc
	s_cbranch_execz .LBB19_4
; %bb.3:
	ds_write_b32 v4, v1
.LBB19_4:
	s_or_b64 exec, exec, s[0:1]
	; wave barrier
	s_and_saveexec_b64 s[0:1], vcc
	s_cbranch_execz .LBB19_6
; %bb.5:
	ds_read_b32 v1, v4
	ds_read_b32 v5, v5 offset:4
	s_waitcnt lgkmcnt(0)
	v_add_u32_e32 v1, v5, v1
.LBB19_6:
	s_or_b64 exec, exec, s[0:1]
	; wave barrier
	s_and_saveexec_b64 s[0:1], vcc
	s_cbranch_execz .LBB19_8
; %bb.7:
	ds_write_b32 v4, v1
.LBB19_8:
	s_or_b64 exec, exec, s[0:1]
	v_mul_lo_u16_e32 v3, 3, v3
	v_sub_u16_e32 v0, v0, v3
	v_cmp_eq_u16_e32 vcc, 0, v0
	; wave barrier
	s_and_saveexec_b64 s[0:1], vcc
	s_cbranch_execz .LBB19_10
; %bb.9:
	s_mov_b32 s0, 0xaaaaaaab
	v_mul_hi_u32 v0, v2, s0
	v_lshrrev_b32_e32 v2, 1, v0
	v_mov_b32_e32 v3, 0
	v_lshlrev_b64 v[2:3], 2, v[2:3]
	v_mov_b32_e32 v0, s3
	v_add_co_u32_e32 v2, vcc, s2, v2
	v_addc_co_u32_e32 v3, vcc, v0, v3, vcc
	global_store_dword v[2:3], v1, off
.LBB19_10:
	s_endpgm
	.section	.rodata,"a",@progbits
	.p2align	6, 0x0
	.amdhsa_kernel _Z18warp_reduce_kernelIiLj63ELj3EENSt9enable_ifIXsr10test_utilsE35device_test_enabled_for_warp_size_vIXT1_EEEvE4typeEPT_S4_
		.amdhsa_group_segment_fixed_size 252
		.amdhsa_private_segment_fixed_size 0
		.amdhsa_kernarg_size 272
		.amdhsa_user_sgpr_count 6
		.amdhsa_user_sgpr_private_segment_buffer 1
		.amdhsa_user_sgpr_dispatch_ptr 0
		.amdhsa_user_sgpr_queue_ptr 0
		.amdhsa_user_sgpr_kernarg_segment_ptr 1
		.amdhsa_user_sgpr_dispatch_id 0
		.amdhsa_user_sgpr_flat_scratch_init 0
		.amdhsa_user_sgpr_kernarg_preload_length 0
		.amdhsa_user_sgpr_kernarg_preload_offset 0
		.amdhsa_user_sgpr_private_segment_size 0
		.amdhsa_uses_dynamic_stack 0
		.amdhsa_system_sgpr_private_segment_wavefront_offset 0
		.amdhsa_system_sgpr_workgroup_id_x 1
		.amdhsa_system_sgpr_workgroup_id_y 0
		.amdhsa_system_sgpr_workgroup_id_z 0
		.amdhsa_system_sgpr_workgroup_info 0
		.amdhsa_system_vgpr_workitem_id 0
		.amdhsa_next_free_vgpr 7
		.amdhsa_next_free_sgpr 8
		.amdhsa_accum_offset 8
		.amdhsa_reserve_vcc 1
		.amdhsa_reserve_flat_scratch 0
		.amdhsa_float_round_mode_32 0
		.amdhsa_float_round_mode_16_64 0
		.amdhsa_float_denorm_mode_32 3
		.amdhsa_float_denorm_mode_16_64 3
		.amdhsa_dx10_clamp 1
		.amdhsa_ieee_mode 1
		.amdhsa_fp16_overflow 0
		.amdhsa_tg_split 0
		.amdhsa_exception_fp_ieee_invalid_op 0
		.amdhsa_exception_fp_denorm_src 0
		.amdhsa_exception_fp_ieee_div_zero 0
		.amdhsa_exception_fp_ieee_overflow 0
		.amdhsa_exception_fp_ieee_underflow 0
		.amdhsa_exception_fp_ieee_inexact 0
		.amdhsa_exception_int_div_zero 0
	.end_amdhsa_kernel
	.section	.text._Z18warp_reduce_kernelIiLj63ELj3EENSt9enable_ifIXsr10test_utilsE35device_test_enabled_for_warp_size_vIXT1_EEEvE4typeEPT_S4_,"axG",@progbits,_Z18warp_reduce_kernelIiLj63ELj3EENSt9enable_ifIXsr10test_utilsE35device_test_enabled_for_warp_size_vIXT1_EEEvE4typeEPT_S4_,comdat
.Lfunc_end19:
	.size	_Z18warp_reduce_kernelIiLj63ELj3EENSt9enable_ifIXsr10test_utilsE35device_test_enabled_for_warp_size_vIXT1_EEEvE4typeEPT_S4_, .Lfunc_end19-_Z18warp_reduce_kernelIiLj63ELj3EENSt9enable_ifIXsr10test_utilsE35device_test_enabled_for_warp_size_vIXT1_EEEvE4typeEPT_S4_
                                        ; -- End function
	.section	.AMDGPU.csdata,"",@progbits
; Kernel info:
; codeLenInByte = 340
; NumSgprs: 12
; NumVgprs: 7
; NumAgprs: 0
; TotalNumVgprs: 7
; ScratchSize: 0
; MemoryBound: 0
; FloatMode: 240
; IeeeMode: 1
; LDSByteSize: 252 bytes/workgroup (compile time only)
; SGPRBlocks: 1
; VGPRBlocks: 0
; NumSGPRsForWavesPerEU: 12
; NumVGPRsForWavesPerEU: 7
; AccumOffset: 8
; Occupancy: 8
; WaveLimiterHint : 0
; COMPUTE_PGM_RSRC2:SCRATCH_EN: 0
; COMPUTE_PGM_RSRC2:USER_SGPR: 6
; COMPUTE_PGM_RSRC2:TRAP_HANDLER: 0
; COMPUTE_PGM_RSRC2:TGID_X_EN: 1
; COMPUTE_PGM_RSRC2:TGID_Y_EN: 0
; COMPUTE_PGM_RSRC2:TGID_Z_EN: 0
; COMPUTE_PGM_RSRC2:TIDIG_COMP_CNT: 0
; COMPUTE_PGM_RSRC3_GFX90A:ACCUM_OFFSET: 1
; COMPUTE_PGM_RSRC3_GFX90A:TG_SPLIT: 0
	.section	.text._Z18warp_reduce_kernelI12hip_bfloat16Lj256ELj64EENSt9enable_ifIXsr10test_utilsE35device_test_enabled_for_warp_size_vIXT1_EEEvE4typeEPT_S5_,"axG",@progbits,_Z18warp_reduce_kernelI12hip_bfloat16Lj256ELj64EENSt9enable_ifIXsr10test_utilsE35device_test_enabled_for_warp_size_vIXT1_EEEvE4typeEPT_S5_,comdat
	.protected	_Z18warp_reduce_kernelI12hip_bfloat16Lj256ELj64EENSt9enable_ifIXsr10test_utilsE35device_test_enabled_for_warp_size_vIXT1_EEEvE4typeEPT_S5_ ; -- Begin function _Z18warp_reduce_kernelI12hip_bfloat16Lj256ELj64EENSt9enable_ifIXsr10test_utilsE35device_test_enabled_for_warp_size_vIXT1_EEEvE4typeEPT_S5_
	.globl	_Z18warp_reduce_kernelI12hip_bfloat16Lj256ELj64EENSt9enable_ifIXsr10test_utilsE35device_test_enabled_for_warp_size_vIXT1_EEEvE4typeEPT_S5_
	.p2align	8
	.type	_Z18warp_reduce_kernelI12hip_bfloat16Lj256ELj64EENSt9enable_ifIXsr10test_utilsE35device_test_enabled_for_warp_size_vIXT1_EEEvE4typeEPT_S5_,@function
_Z18warp_reduce_kernelI12hip_bfloat16Lj256ELj64EENSt9enable_ifIXsr10test_utilsE35device_test_enabled_for_warp_size_vIXT1_EEEvE4typeEPT_S5_: ; @_Z18warp_reduce_kernelI12hip_bfloat16Lj256ELj64EENSt9enable_ifIXsr10test_utilsE35device_test_enabled_for_warp_size_vIXT1_EEEvE4typeEPT_S5_
; %bb.0:
	s_load_dword s7, s[4:5], 0x1c
	s_load_dwordx4 s[0:3], s[4:5], 0x0
	v_mov_b32_e32 v3, 0
	s_waitcnt lgkmcnt(0)
	s_and_b32 s4, s7, 0xffff
	s_mul_i32 s6, s6, s4
	v_add_u32_e32 v2, s6, v0
	v_lshlrev_b64 v[4:5], 1, v[2:3]
	v_mov_b32_e32 v1, s1
	v_add_co_u32_e32 v4, vcc, s0, v4
	v_addc_co_u32_e32 v5, vcc, v1, v5, vcc
	global_load_ushort v1, v[4:5], off
	s_mov_b32 s0, 0x7f800000
	s_waitcnt vmcnt(0)
	v_lshlrev_b32_e32 v4, 16, v1
	v_mov_b32_dpp v3, v1 quad_perm:[1,0,3,2] row_mask:0xf bank_mask:0xf
	v_lshlrev_b32_e32 v6, 16, v3
	v_pk_add_f32 v[4:5], v[6:7], v[4:5] op_sel_hi:[0,1]
	v_and_b32_e32 v1, 0x7f800000, v4
	v_cmp_ne_u32_e32 vcc, s0, v1
                                        ; implicit-def: $vgpr1
	s_and_saveexec_b64 s[0:1], vcc
	s_xor_b64 s[0:1], exec, s[0:1]
; %bb.1:
	v_bfe_u32 v1, v4, 16, 1
	s_movk_i32 s4, 0x7fff
	v_add3_u32 v1, v4, v1, s4
                                        ; implicit-def: $vgpr4_vgpr5
; %bb.2:
	s_andn2_saveexec_b64 s[0:1], s[0:1]
; %bb.3:
	v_mov_b32_e32 v1, 0
	v_or_b32_e32 v3, 0x10000, v4
	v_cmp_eq_u32_sdwa vcc, v4, v1 src0_sel:WORD_0 src1_sel:DWORD
	v_cndmask_b32_e32 v1, v3, v4, vcc
; %bb.4:
	s_or_b64 exec, exec, s[0:1]
	v_lshrrev_b32_e32 v3, 16, v1
	v_and_b32_e32 v1, 0xffff0000, v1
	s_mov_b32 s0, 0x7f800000
	v_mov_b32_dpp v3, v3 quad_perm:[2,3,0,1] row_mask:0xf bank_mask:0xf
	v_lshlrev_b32_e32 v3, 16, v3
	v_add_f32_e32 v1, v1, v3
	v_and_b32_e32 v3, 0x7f800000, v1
	v_cmp_ne_u32_e32 vcc, s0, v3
                                        ; implicit-def: $vgpr3
	s_and_saveexec_b64 s[0:1], vcc
	s_xor_b64 s[0:1], exec, s[0:1]
; %bb.5:
	v_bfe_u32 v3, v1, 16, 1
	s_movk_i32 s4, 0x7fff
	v_add3_u32 v3, v1, v3, s4
                                        ; implicit-def: $vgpr1
; %bb.6:
	s_andn2_saveexec_b64 s[0:1], s[0:1]
; %bb.7:
	v_mov_b32_e32 v3, 0
	v_or_b32_e32 v4, 0x10000, v1
	v_cmp_eq_u32_sdwa vcc, v1, v3 src0_sel:WORD_0 src1_sel:DWORD
	v_cndmask_b32_e32 v3, v4, v1, vcc
; %bb.8:
	s_or_b64 exec, exec, s[0:1]
	v_lshrrev_b32_e32 v1, 16, v3
	v_and_b32_e32 v3, 0xffff0000, v3
	s_mov_b32 s0, 0x7f800000
	v_mov_b32_dpp v1, v1 row_ror:4 row_mask:0xf bank_mask:0xf
	v_lshlrev_b32_e32 v1, 16, v1
	v_add_f32_e32 v1, v3, v1
	v_and_b32_e32 v3, 0x7f800000, v1
	v_cmp_ne_u32_e32 vcc, s0, v3
                                        ; implicit-def: $vgpr3
	s_and_saveexec_b64 s[0:1], vcc
	s_xor_b64 s[0:1], exec, s[0:1]
; %bb.9:
	v_bfe_u32 v3, v1, 16, 1
	s_movk_i32 s4, 0x7fff
	v_add3_u32 v3, v1, v3, s4
                                        ; implicit-def: $vgpr1
; %bb.10:
	s_andn2_saveexec_b64 s[0:1], s[0:1]
; %bb.11:
	v_mov_b32_e32 v3, 0
	v_or_b32_e32 v4, 0x10000, v1
	v_cmp_eq_u32_sdwa vcc, v1, v3 src0_sel:WORD_0 src1_sel:DWORD
	v_cndmask_b32_e32 v3, v4, v1, vcc
; %bb.12:
	s_or_b64 exec, exec, s[0:1]
	v_lshrrev_b32_e32 v1, 16, v3
	v_and_b32_e32 v3, 0xffff0000, v3
	s_mov_b32 s0, 0x7f800000
	v_mov_b32_dpp v1, v1 row_ror:8 row_mask:0xf bank_mask:0xf
	v_lshlrev_b32_e32 v1, 16, v1
	v_add_f32_e32 v1, v3, v1
	v_and_b32_e32 v3, 0x7f800000, v1
	v_cmp_ne_u32_e32 vcc, s0, v3
                                        ; implicit-def: $vgpr3
	s_and_saveexec_b64 s[0:1], vcc
	s_xor_b64 s[0:1], exec, s[0:1]
; %bb.13:
	v_bfe_u32 v3, v1, 16, 1
	s_movk_i32 s4, 0x7fff
	v_add3_u32 v3, v1, v3, s4
                                        ; implicit-def: $vgpr1
; %bb.14:
	s_andn2_saveexec_b64 s[0:1], s[0:1]
; %bb.15:
	v_mov_b32_e32 v3, 0
	v_or_b32_e32 v4, 0x10000, v1
	v_cmp_eq_u32_sdwa vcc, v1, v3 src0_sel:WORD_0 src1_sel:DWORD
	v_cndmask_b32_e32 v3, v4, v1, vcc
; %bb.16:
	s_or_b64 exec, exec, s[0:1]
	v_lshrrev_b32_e32 v1, 16, v3
	v_and_b32_e32 v3, 0xffff0000, v3
	s_mov_b32 s0, 0x7f800000
	v_mov_b32_dpp v1, v1 row_bcast:15 row_mask:0xf bank_mask:0xf
	v_lshlrev_b32_e32 v1, 16, v1
	v_add_f32_e32 v1, v3, v1
	v_and_b32_e32 v3, 0x7f800000, v1
	v_cmp_ne_u32_e32 vcc, s0, v3
                                        ; implicit-def: $vgpr3
	s_and_saveexec_b64 s[0:1], vcc
	s_xor_b64 s[0:1], exec, s[0:1]
; %bb.17:
	v_bfe_u32 v3, v1, 16, 1
	s_movk_i32 s4, 0x7fff
	v_add3_u32 v3, v1, v3, s4
                                        ; implicit-def: $vgpr1
; %bb.18:
	s_andn2_saveexec_b64 s[0:1], s[0:1]
; %bb.19:
	v_mov_b32_e32 v3, 0
	v_or_b32_e32 v4, 0x10000, v1
	v_cmp_eq_u32_sdwa vcc, v1, v3 src0_sel:WORD_0 src1_sel:DWORD
	v_cndmask_b32_e32 v3, v4, v1, vcc
; %bb.20:
	s_or_b64 exec, exec, s[0:1]
	v_lshrrev_b32_e32 v1, 16, v3
	v_and_b32_e32 v3, 0xffff0000, v3
	s_mov_b32 s0, 0x7f800000
	v_mov_b32_dpp v1, v1 row_bcast:31 row_mask:0xf bank_mask:0xf
	v_lshlrev_b32_e32 v1, 16, v1
	v_add_f32_e32 v1, v3, v1
	v_and_b32_e32 v3, 0x7f800000, v1
	v_cmp_ne_u32_e32 vcc, s0, v3
                                        ; implicit-def: $vgpr3
	s_and_saveexec_b64 s[0:1], vcc
	s_xor_b64 s[0:1], exec, s[0:1]
; %bb.21:
	v_bfe_u32 v3, v1, 16, 1
	s_movk_i32 s4, 0x7fff
	v_add3_u32 v3, v1, v3, s4
                                        ; implicit-def: $vgpr1
; %bb.22:
	s_andn2_saveexec_b64 s[0:1], s[0:1]
; %bb.23:
	v_mov_b32_e32 v3, 0
	v_or_b32_e32 v4, 0x10000, v1
	v_cmp_eq_u32_sdwa vcc, v1, v3 src0_sel:WORD_0 src1_sel:DWORD
	v_cndmask_b32_e32 v3, v4, v1, vcc
; %bb.24:
	s_or_b64 exec, exec, s[0:1]
	v_lshrrev_b32_e32 v1, 16, v3
	v_mbcnt_lo_u32_b32 v3, -1, 0
	v_mbcnt_hi_u32_b32 v3, -1, v3
	v_bfrev_b32_e32 v4, 0.5
	v_lshl_or_b32 v3, v3, 2, v4
	ds_bpermute_b32 v1, v3, v1
	v_and_b32_e32 v0, 63, v0
	v_cmp_eq_u32_e32 vcc, 0, v0
	s_and_saveexec_b64 s[0:1], vcc
	s_cbranch_execz .LBB20_26
; %bb.25:
	v_lshrrev_b32_e32 v0, 5, v2
	v_and_b32_e32 v0, 0x7fffffe, v0
	s_waitcnt lgkmcnt(0)
	global_store_short v0, v1, s[2:3]
.LBB20_26:
	s_endpgm
	.section	.rodata,"a",@progbits
	.p2align	6, 0x0
	.amdhsa_kernel _Z18warp_reduce_kernelI12hip_bfloat16Lj256ELj64EENSt9enable_ifIXsr10test_utilsE35device_test_enabled_for_warp_size_vIXT1_EEEvE4typeEPT_S5_
		.amdhsa_group_segment_fixed_size 0
		.amdhsa_private_segment_fixed_size 0
		.amdhsa_kernarg_size 272
		.amdhsa_user_sgpr_count 6
		.amdhsa_user_sgpr_private_segment_buffer 1
		.amdhsa_user_sgpr_dispatch_ptr 0
		.amdhsa_user_sgpr_queue_ptr 0
		.amdhsa_user_sgpr_kernarg_segment_ptr 1
		.amdhsa_user_sgpr_dispatch_id 0
		.amdhsa_user_sgpr_flat_scratch_init 0
		.amdhsa_user_sgpr_kernarg_preload_length 0
		.amdhsa_user_sgpr_kernarg_preload_offset 0
		.amdhsa_user_sgpr_private_segment_size 0
		.amdhsa_uses_dynamic_stack 0
		.amdhsa_system_sgpr_private_segment_wavefront_offset 0
		.amdhsa_system_sgpr_workgroup_id_x 1
		.amdhsa_system_sgpr_workgroup_id_y 0
		.amdhsa_system_sgpr_workgroup_id_z 0
		.amdhsa_system_sgpr_workgroup_info 0
		.amdhsa_system_vgpr_workitem_id 0
		.amdhsa_next_free_vgpr 8
		.amdhsa_next_free_sgpr 8
		.amdhsa_accum_offset 8
		.amdhsa_reserve_vcc 1
		.amdhsa_reserve_flat_scratch 0
		.amdhsa_float_round_mode_32 0
		.amdhsa_float_round_mode_16_64 0
		.amdhsa_float_denorm_mode_32 3
		.amdhsa_float_denorm_mode_16_64 3
		.amdhsa_dx10_clamp 1
		.amdhsa_ieee_mode 1
		.amdhsa_fp16_overflow 0
		.amdhsa_tg_split 0
		.amdhsa_exception_fp_ieee_invalid_op 0
		.amdhsa_exception_fp_denorm_src 0
		.amdhsa_exception_fp_ieee_div_zero 0
		.amdhsa_exception_fp_ieee_overflow 0
		.amdhsa_exception_fp_ieee_underflow 0
		.amdhsa_exception_fp_ieee_inexact 0
		.amdhsa_exception_int_div_zero 0
	.end_amdhsa_kernel
	.section	.text._Z18warp_reduce_kernelI12hip_bfloat16Lj256ELj64EENSt9enable_ifIXsr10test_utilsE35device_test_enabled_for_warp_size_vIXT1_EEEvE4typeEPT_S5_,"axG",@progbits,_Z18warp_reduce_kernelI12hip_bfloat16Lj256ELj64EENSt9enable_ifIXsr10test_utilsE35device_test_enabled_for_warp_size_vIXT1_EEEvE4typeEPT_S5_,comdat
.Lfunc_end20:
	.size	_Z18warp_reduce_kernelI12hip_bfloat16Lj256ELj64EENSt9enable_ifIXsr10test_utilsE35device_test_enabled_for_warp_size_vIXT1_EEEvE4typeEPT_S5_, .Lfunc_end20-_Z18warp_reduce_kernelI12hip_bfloat16Lj256ELj64EENSt9enable_ifIXsr10test_utilsE35device_test_enabled_for_warp_size_vIXT1_EEEvE4typeEPT_S5_
                                        ; -- End function
	.section	.AMDGPU.csdata,"",@progbits
; Kernel info:
; codeLenInByte = 800
; NumSgprs: 12
; NumVgprs: 8
; NumAgprs: 0
; TotalNumVgprs: 8
; ScratchSize: 0
; MemoryBound: 0
; FloatMode: 240
; IeeeMode: 1
; LDSByteSize: 0 bytes/workgroup (compile time only)
; SGPRBlocks: 1
; VGPRBlocks: 0
; NumSGPRsForWavesPerEU: 12
; NumVGPRsForWavesPerEU: 8
; AccumOffset: 8
; Occupancy: 8
; WaveLimiterHint : 0
; COMPUTE_PGM_RSRC2:SCRATCH_EN: 0
; COMPUTE_PGM_RSRC2:USER_SGPR: 6
; COMPUTE_PGM_RSRC2:TRAP_HANDLER: 0
; COMPUTE_PGM_RSRC2:TGID_X_EN: 1
; COMPUTE_PGM_RSRC2:TGID_Y_EN: 0
; COMPUTE_PGM_RSRC2:TGID_Z_EN: 0
; COMPUTE_PGM_RSRC2:TIDIG_COMP_CNT: 0
; COMPUTE_PGM_RSRC3_GFX90A:ACCUM_OFFSET: 1
; COMPUTE_PGM_RSRC3_GFX90A:TG_SPLIT: 0
	.section	.text._Z18warp_reduce_kernelI12hip_bfloat16Lj128ELj32EENSt9enable_ifIXsr10test_utilsE35device_test_enabled_for_warp_size_vIXT1_EEEvE4typeEPT_S5_,"axG",@progbits,_Z18warp_reduce_kernelI12hip_bfloat16Lj128ELj32EENSt9enable_ifIXsr10test_utilsE35device_test_enabled_for_warp_size_vIXT1_EEEvE4typeEPT_S5_,comdat
	.protected	_Z18warp_reduce_kernelI12hip_bfloat16Lj128ELj32EENSt9enable_ifIXsr10test_utilsE35device_test_enabled_for_warp_size_vIXT1_EEEvE4typeEPT_S5_ ; -- Begin function _Z18warp_reduce_kernelI12hip_bfloat16Lj128ELj32EENSt9enable_ifIXsr10test_utilsE35device_test_enabled_for_warp_size_vIXT1_EEEvE4typeEPT_S5_
	.globl	_Z18warp_reduce_kernelI12hip_bfloat16Lj128ELj32EENSt9enable_ifIXsr10test_utilsE35device_test_enabled_for_warp_size_vIXT1_EEEvE4typeEPT_S5_
	.p2align	8
	.type	_Z18warp_reduce_kernelI12hip_bfloat16Lj128ELj32EENSt9enable_ifIXsr10test_utilsE35device_test_enabled_for_warp_size_vIXT1_EEEvE4typeEPT_S5_,@function
_Z18warp_reduce_kernelI12hip_bfloat16Lj128ELj32EENSt9enable_ifIXsr10test_utilsE35device_test_enabled_for_warp_size_vIXT1_EEEvE4typeEPT_S5_: ; @_Z18warp_reduce_kernelI12hip_bfloat16Lj128ELj32EENSt9enable_ifIXsr10test_utilsE35device_test_enabled_for_warp_size_vIXT1_EEEvE4typeEPT_S5_
; %bb.0:
	s_load_dword s7, s[4:5], 0x1c
	s_load_dwordx4 s[0:3], s[4:5], 0x0
	v_mov_b32_e32 v3, 0
	s_waitcnt lgkmcnt(0)
	s_and_b32 s4, s7, 0xffff
	s_mul_i32 s6, s6, s4
	v_add_u32_e32 v2, s6, v0
	v_lshlrev_b64 v[4:5], 1, v[2:3]
	v_mov_b32_e32 v1, s1
	v_add_co_u32_e32 v4, vcc, s0, v4
	v_addc_co_u32_e32 v5, vcc, v1, v5, vcc
	global_load_ushort v4, v[4:5], off
	v_mbcnt_lo_u32_b32 v1, -1, 0
	v_mbcnt_hi_u32_b32 v1, -1, v1
	v_and_b32_e32 v3, 31, v1
	v_cmp_ne_u32_e32 vcc, 31, v3
	v_addc_co_u32_e32 v5, vcc, 0, v1, vcc
	v_lshlrev_b32_e32 v5, 2, v5
	s_mov_b32 s0, 0x7f800000
	s_waitcnt vmcnt(0)
	ds_bpermute_b32 v5, v5, v4
	v_lshlrev_b32_e32 v4, 16, v4
	s_waitcnt lgkmcnt(0)
	v_lshlrev_b32_e32 v6, 16, v5
	v_pk_add_f32 v[4:5], v[6:7], v[4:5] op_sel_hi:[0,1]
	v_and_b32_e32 v5, 0x7f800000, v4
	v_cmp_ne_u32_e32 vcc, s0, v5
                                        ; implicit-def: $vgpr6
	s_and_saveexec_b64 s[0:1], vcc
	s_xor_b64 s[0:1], exec, s[0:1]
; %bb.1:
	v_bfe_u32 v5, v4, 16, 1
	s_movk_i32 s4, 0x7fff
	v_add3_u32 v6, v4, v5, s4
                                        ; implicit-def: $vgpr4_vgpr5
; %bb.2:
	s_andn2_saveexec_b64 s[0:1], s[0:1]
; %bb.3:
	v_mov_b32_e32 v5, 0
	v_or_b32_e32 v6, 0x10000, v4
	v_cmp_eq_u32_sdwa vcc, v4, v5 src0_sel:WORD_0 src1_sel:DWORD
	v_cndmask_b32_e32 v6, v6, v4, vcc
; %bb.4:
	s_or_b64 exec, exec, s[0:1]
	v_cmp_gt_u32_e32 vcc, 30, v3
	v_cndmask_b32_e64 v5, 0, 1, vcc
	v_lshlrev_b32_e32 v5, 1, v5
	v_lshrrev_b32_e32 v4, 16, v6
	v_add_lshl_u32 v5, v5, v1, 2
	ds_bpermute_b32 v4, v5, v4
	v_and_b32_e32 v5, 0xffff0000, v6
	s_mov_b32 s0, 0x7f800000
	s_waitcnt lgkmcnt(0)
	v_lshlrev_b32_e32 v4, 16, v4
	v_add_f32_e32 v5, v5, v4
	v_and_b32_e32 v4, 0x7f800000, v5
	v_cmp_ne_u32_e32 vcc, s0, v4
                                        ; implicit-def: $vgpr4
	s_and_saveexec_b64 s[0:1], vcc
	s_xor_b64 s[0:1], exec, s[0:1]
; %bb.5:
	v_bfe_u32 v4, v5, 16, 1
	s_movk_i32 s4, 0x7fff
	v_add3_u32 v4, v5, v4, s4
                                        ; implicit-def: $vgpr5
; %bb.6:
	s_andn2_saveexec_b64 s[0:1], s[0:1]
; %bb.7:
	v_mov_b32_e32 v4, 0
	v_or_b32_e32 v6, 0x10000, v5
	v_cmp_eq_u32_sdwa vcc, v5, v4 src0_sel:WORD_0 src1_sel:DWORD
	v_cndmask_b32_e32 v4, v6, v5, vcc
; %bb.8:
	s_or_b64 exec, exec, s[0:1]
	v_cmp_gt_u32_e32 vcc, 28, v3
	v_cndmask_b32_e64 v6, 0, 1, vcc
	v_lshlrev_b32_e32 v6, 2, v6
	v_lshrrev_b32_e32 v5, 16, v4
	v_add_lshl_u32 v6, v6, v1, 2
	ds_bpermute_b32 v5, v6, v5
	v_and_b32_e32 v4, 0xffff0000, v4
	s_mov_b32 s0, 0x7f800000
	s_waitcnt lgkmcnt(0)
	v_lshlrev_b32_e32 v5, 16, v5
	v_add_f32_e32 v5, v4, v5
	v_and_b32_e32 v4, 0x7f800000, v5
	v_cmp_ne_u32_e32 vcc, s0, v4
                                        ; implicit-def: $vgpr4
	s_and_saveexec_b64 s[0:1], vcc
	s_xor_b64 s[0:1], exec, s[0:1]
; %bb.9:
	v_bfe_u32 v4, v5, 16, 1
	s_movk_i32 s4, 0x7fff
	v_add3_u32 v4, v5, v4, s4
                                        ; implicit-def: $vgpr5
	;; [unrolled: 30-line block ×3, first 2 shown]
; %bb.14:
	s_andn2_saveexec_b64 s[0:1], s[0:1]
; %bb.15:
	v_mov_b32_e32 v4, 0
	v_or_b32_e32 v6, 0x10000, v5
	v_cmp_eq_u32_sdwa vcc, v5, v4 src0_sel:WORD_0 src1_sel:DWORD
	v_cndmask_b32_e32 v4, v6, v5, vcc
; %bb.16:
	s_or_b64 exec, exec, s[0:1]
	v_cmp_gt_u32_e32 vcc, 16, v3
	v_cndmask_b32_e64 v3, 0, 1, vcc
	v_lshlrev_b32_e32 v3, 4, v3
	v_lshrrev_b32_e32 v5, 16, v4
	v_add_lshl_u32 v1, v3, v1, 2
	ds_bpermute_b32 v1, v1, v5
	v_and_b32_e32 v3, 0xffff0000, v4
	s_mov_b32 s0, 0x7f800000
	s_waitcnt lgkmcnt(0)
	v_lshlrev_b32_e32 v1, 16, v1
	v_add_f32_e32 v3, v3, v1
	v_and_b32_e32 v1, 0x7f800000, v3
	v_cmp_ne_u32_e32 vcc, s0, v1
                                        ; implicit-def: $vgpr1
	s_and_saveexec_b64 s[0:1], vcc
	s_xor_b64 s[0:1], exec, s[0:1]
; %bb.17:
	v_bfe_u32 v1, v3, 16, 1
	s_movk_i32 s4, 0x7fff
	v_add3_u32 v1, v3, v1, s4
                                        ; implicit-def: $vgpr3
; %bb.18:
	s_andn2_saveexec_b64 s[0:1], s[0:1]
; %bb.19:
	v_mov_b32_e32 v1, 0
	v_or_b32_e32 v4, 0x10000, v3
	v_cmp_eq_u32_sdwa vcc, v3, v1 src0_sel:WORD_0 src1_sel:DWORD
	v_cndmask_b32_e32 v1, v4, v3, vcc
; %bb.20:
	s_or_b64 exec, exec, s[0:1]
	v_and_b32_e32 v0, 31, v0
	v_cmp_eq_u32_e32 vcc, 0, v0
	s_and_saveexec_b64 s[0:1], vcc
	s_cbranch_execz .LBB21_22
; %bb.21:
	v_lshrrev_b32_e32 v0, 4, v2
	v_and_b32_e32 v0, 0xffffffe, v0
	global_store_short_d16_hi v0, v1, s[2:3]
.LBB21_22:
	s_endpgm
	.section	.rodata,"a",@progbits
	.p2align	6, 0x0
	.amdhsa_kernel _Z18warp_reduce_kernelI12hip_bfloat16Lj128ELj32EENSt9enable_ifIXsr10test_utilsE35device_test_enabled_for_warp_size_vIXT1_EEEvE4typeEPT_S5_
		.amdhsa_group_segment_fixed_size 0
		.amdhsa_private_segment_fixed_size 0
		.amdhsa_kernarg_size 272
		.amdhsa_user_sgpr_count 6
		.amdhsa_user_sgpr_private_segment_buffer 1
		.amdhsa_user_sgpr_dispatch_ptr 0
		.amdhsa_user_sgpr_queue_ptr 0
		.amdhsa_user_sgpr_kernarg_segment_ptr 1
		.amdhsa_user_sgpr_dispatch_id 0
		.amdhsa_user_sgpr_flat_scratch_init 0
		.amdhsa_user_sgpr_kernarg_preload_length 0
		.amdhsa_user_sgpr_kernarg_preload_offset 0
		.amdhsa_user_sgpr_private_segment_size 0
		.amdhsa_uses_dynamic_stack 0
		.amdhsa_system_sgpr_private_segment_wavefront_offset 0
		.amdhsa_system_sgpr_workgroup_id_x 1
		.amdhsa_system_sgpr_workgroup_id_y 0
		.amdhsa_system_sgpr_workgroup_id_z 0
		.amdhsa_system_sgpr_workgroup_info 0
		.amdhsa_system_vgpr_workitem_id 0
		.amdhsa_next_free_vgpr 8
		.amdhsa_next_free_sgpr 8
		.amdhsa_accum_offset 8
		.amdhsa_reserve_vcc 1
		.amdhsa_reserve_flat_scratch 0
		.amdhsa_float_round_mode_32 0
		.amdhsa_float_round_mode_16_64 0
		.amdhsa_float_denorm_mode_32 3
		.amdhsa_float_denorm_mode_16_64 3
		.amdhsa_dx10_clamp 1
		.amdhsa_ieee_mode 1
		.amdhsa_fp16_overflow 0
		.amdhsa_tg_split 0
		.amdhsa_exception_fp_ieee_invalid_op 0
		.amdhsa_exception_fp_denorm_src 0
		.amdhsa_exception_fp_ieee_div_zero 0
		.amdhsa_exception_fp_ieee_overflow 0
		.amdhsa_exception_fp_ieee_underflow 0
		.amdhsa_exception_fp_ieee_inexact 0
		.amdhsa_exception_int_div_zero 0
	.end_amdhsa_kernel
	.section	.text._Z18warp_reduce_kernelI12hip_bfloat16Lj128ELj32EENSt9enable_ifIXsr10test_utilsE35device_test_enabled_for_warp_size_vIXT1_EEEvE4typeEPT_S5_,"axG",@progbits,_Z18warp_reduce_kernelI12hip_bfloat16Lj128ELj32EENSt9enable_ifIXsr10test_utilsE35device_test_enabled_for_warp_size_vIXT1_EEEvE4typeEPT_S5_,comdat
.Lfunc_end21:
	.size	_Z18warp_reduce_kernelI12hip_bfloat16Lj128ELj32EENSt9enable_ifIXsr10test_utilsE35device_test_enabled_for_warp_size_vIXT1_EEEvE4typeEPT_S5_, .Lfunc_end21-_Z18warp_reduce_kernelI12hip_bfloat16Lj128ELj32EENSt9enable_ifIXsr10test_utilsE35device_test_enabled_for_warp_size_vIXT1_EEEvE4typeEPT_S5_
                                        ; -- End function
	.section	.AMDGPU.csdata,"",@progbits
; Kernel info:
; codeLenInByte = 796
; NumSgprs: 12
; NumVgprs: 8
; NumAgprs: 0
; TotalNumVgprs: 8
; ScratchSize: 0
; MemoryBound: 0
; FloatMode: 240
; IeeeMode: 1
; LDSByteSize: 0 bytes/workgroup (compile time only)
; SGPRBlocks: 1
; VGPRBlocks: 0
; NumSGPRsForWavesPerEU: 12
; NumVGPRsForWavesPerEU: 8
; AccumOffset: 8
; Occupancy: 8
; WaveLimiterHint : 0
; COMPUTE_PGM_RSRC2:SCRATCH_EN: 0
; COMPUTE_PGM_RSRC2:USER_SGPR: 6
; COMPUTE_PGM_RSRC2:TRAP_HANDLER: 0
; COMPUTE_PGM_RSRC2:TGID_X_EN: 1
; COMPUTE_PGM_RSRC2:TGID_Y_EN: 0
; COMPUTE_PGM_RSRC2:TGID_Z_EN: 0
; COMPUTE_PGM_RSRC2:TIDIG_COMP_CNT: 0
; COMPUTE_PGM_RSRC3_GFX90A:ACCUM_OFFSET: 1
; COMPUTE_PGM_RSRC3_GFX90A:TG_SPLIT: 0
	.section	.text._Z18warp_reduce_kernelI12hip_bfloat16Lj64ELj16EENSt9enable_ifIXsr10test_utilsE35device_test_enabled_for_warp_size_vIXT1_EEEvE4typeEPT_S5_,"axG",@progbits,_Z18warp_reduce_kernelI12hip_bfloat16Lj64ELj16EENSt9enable_ifIXsr10test_utilsE35device_test_enabled_for_warp_size_vIXT1_EEEvE4typeEPT_S5_,comdat
	.protected	_Z18warp_reduce_kernelI12hip_bfloat16Lj64ELj16EENSt9enable_ifIXsr10test_utilsE35device_test_enabled_for_warp_size_vIXT1_EEEvE4typeEPT_S5_ ; -- Begin function _Z18warp_reduce_kernelI12hip_bfloat16Lj64ELj16EENSt9enable_ifIXsr10test_utilsE35device_test_enabled_for_warp_size_vIXT1_EEEvE4typeEPT_S5_
	.globl	_Z18warp_reduce_kernelI12hip_bfloat16Lj64ELj16EENSt9enable_ifIXsr10test_utilsE35device_test_enabled_for_warp_size_vIXT1_EEEvE4typeEPT_S5_
	.p2align	8
	.type	_Z18warp_reduce_kernelI12hip_bfloat16Lj64ELj16EENSt9enable_ifIXsr10test_utilsE35device_test_enabled_for_warp_size_vIXT1_EEEvE4typeEPT_S5_,@function
_Z18warp_reduce_kernelI12hip_bfloat16Lj64ELj16EENSt9enable_ifIXsr10test_utilsE35device_test_enabled_for_warp_size_vIXT1_EEEvE4typeEPT_S5_: ; @_Z18warp_reduce_kernelI12hip_bfloat16Lj64ELj16EENSt9enable_ifIXsr10test_utilsE35device_test_enabled_for_warp_size_vIXT1_EEEvE4typeEPT_S5_
; %bb.0:
	s_load_dword s7, s[4:5], 0x1c
	s_load_dwordx4 s[0:3], s[4:5], 0x0
	v_mov_b32_e32 v3, 0
	s_waitcnt lgkmcnt(0)
	s_and_b32 s4, s7, 0xffff
	s_mul_i32 s6, s6, s4
	v_add_u32_e32 v2, s6, v0
	v_lshlrev_b64 v[4:5], 1, v[2:3]
	v_mov_b32_e32 v1, s1
	v_add_co_u32_e32 v4, vcc, s0, v4
	v_addc_co_u32_e32 v5, vcc, v1, v5, vcc
	global_load_ushort v4, v[4:5], off
	v_mbcnt_lo_u32_b32 v1, -1, 0
	v_mbcnt_hi_u32_b32 v1, -1, v1
	v_and_b32_e32 v3, 15, v1
	v_cmp_ne_u32_e32 vcc, 15, v3
	v_addc_co_u32_e32 v5, vcc, 0, v1, vcc
	v_lshlrev_b32_e32 v5, 2, v5
	s_mov_b32 s0, 0x7f800000
	s_waitcnt vmcnt(0)
	ds_bpermute_b32 v5, v5, v4
	v_lshlrev_b32_e32 v4, 16, v4
	s_waitcnt lgkmcnt(0)
	v_lshlrev_b32_e32 v6, 16, v5
	v_pk_add_f32 v[4:5], v[6:7], v[4:5] op_sel_hi:[0,1]
	v_and_b32_e32 v5, 0x7f800000, v4
	v_cmp_ne_u32_e32 vcc, s0, v5
                                        ; implicit-def: $vgpr6
	s_and_saveexec_b64 s[0:1], vcc
	s_xor_b64 s[0:1], exec, s[0:1]
; %bb.1:
	v_bfe_u32 v5, v4, 16, 1
	s_movk_i32 s4, 0x7fff
	v_add3_u32 v6, v4, v5, s4
                                        ; implicit-def: $vgpr4_vgpr5
; %bb.2:
	s_andn2_saveexec_b64 s[0:1], s[0:1]
; %bb.3:
	v_mov_b32_e32 v5, 0
	v_or_b32_e32 v6, 0x10000, v4
	v_cmp_eq_u32_sdwa vcc, v4, v5 src0_sel:WORD_0 src1_sel:DWORD
	v_cndmask_b32_e32 v6, v6, v4, vcc
; %bb.4:
	s_or_b64 exec, exec, s[0:1]
	v_cmp_gt_u32_e32 vcc, 14, v3
	v_cndmask_b32_e64 v5, 0, 1, vcc
	v_lshlrev_b32_e32 v5, 1, v5
	v_lshrrev_b32_e32 v4, 16, v6
	v_add_lshl_u32 v5, v5, v1, 2
	ds_bpermute_b32 v4, v5, v4
	v_and_b32_e32 v5, 0xffff0000, v6
	s_mov_b32 s0, 0x7f800000
	s_waitcnt lgkmcnt(0)
	v_lshlrev_b32_e32 v4, 16, v4
	v_add_f32_e32 v5, v5, v4
	v_and_b32_e32 v4, 0x7f800000, v5
	v_cmp_ne_u32_e32 vcc, s0, v4
                                        ; implicit-def: $vgpr4
	s_and_saveexec_b64 s[0:1], vcc
	s_xor_b64 s[0:1], exec, s[0:1]
; %bb.5:
	v_bfe_u32 v4, v5, 16, 1
	s_movk_i32 s4, 0x7fff
	v_add3_u32 v4, v5, v4, s4
                                        ; implicit-def: $vgpr5
; %bb.6:
	s_andn2_saveexec_b64 s[0:1], s[0:1]
; %bb.7:
	v_mov_b32_e32 v4, 0
	v_or_b32_e32 v6, 0x10000, v5
	v_cmp_eq_u32_sdwa vcc, v5, v4 src0_sel:WORD_0 src1_sel:DWORD
	v_cndmask_b32_e32 v4, v6, v5, vcc
; %bb.8:
	s_or_b64 exec, exec, s[0:1]
	v_cmp_gt_u32_e32 vcc, 12, v3
	v_cndmask_b32_e64 v6, 0, 1, vcc
	v_lshlrev_b32_e32 v6, 2, v6
	v_lshrrev_b32_e32 v5, 16, v4
	v_add_lshl_u32 v6, v6, v1, 2
	ds_bpermute_b32 v5, v6, v5
	v_and_b32_e32 v4, 0xffff0000, v4
	s_mov_b32 s0, 0x7f800000
	s_waitcnt lgkmcnt(0)
	v_lshlrev_b32_e32 v5, 16, v5
	v_add_f32_e32 v5, v4, v5
	v_and_b32_e32 v4, 0x7f800000, v5
	v_cmp_ne_u32_e32 vcc, s0, v4
                                        ; implicit-def: $vgpr4
	s_and_saveexec_b64 s[0:1], vcc
	s_xor_b64 s[0:1], exec, s[0:1]
; %bb.9:
	v_bfe_u32 v4, v5, 16, 1
	s_movk_i32 s4, 0x7fff
	v_add3_u32 v4, v5, v4, s4
                                        ; implicit-def: $vgpr5
; %bb.10:
	s_andn2_saveexec_b64 s[0:1], s[0:1]
; %bb.11:
	v_mov_b32_e32 v4, 0
	v_or_b32_e32 v6, 0x10000, v5
	v_cmp_eq_u32_sdwa vcc, v5, v4 src0_sel:WORD_0 src1_sel:DWORD
	v_cndmask_b32_e32 v4, v6, v5, vcc
; %bb.12:
	s_or_b64 exec, exec, s[0:1]
	v_cmp_gt_u32_e32 vcc, 8, v3
	v_cndmask_b32_e64 v3, 0, 1, vcc
	v_lshlrev_b32_e32 v3, 3, v3
	v_lshrrev_b32_e32 v5, 16, v4
	v_add_lshl_u32 v1, v3, v1, 2
	ds_bpermute_b32 v1, v1, v5
	v_and_b32_e32 v3, 0xffff0000, v4
	s_mov_b32 s0, 0x7f800000
	s_waitcnt lgkmcnt(0)
	v_lshlrev_b32_e32 v1, 16, v1
	v_add_f32_e32 v3, v3, v1
	v_and_b32_e32 v1, 0x7f800000, v3
	v_cmp_ne_u32_e32 vcc, s0, v1
                                        ; implicit-def: $vgpr1
	s_and_saveexec_b64 s[0:1], vcc
	s_xor_b64 s[0:1], exec, s[0:1]
; %bb.13:
	v_bfe_u32 v1, v3, 16, 1
	s_movk_i32 s4, 0x7fff
	v_add3_u32 v1, v3, v1, s4
                                        ; implicit-def: $vgpr3
; %bb.14:
	s_andn2_saveexec_b64 s[0:1], s[0:1]
; %bb.15:
	v_mov_b32_e32 v1, 0
	v_or_b32_e32 v4, 0x10000, v3
	v_cmp_eq_u32_sdwa vcc, v3, v1 src0_sel:WORD_0 src1_sel:DWORD
	v_cndmask_b32_e32 v1, v4, v3, vcc
; %bb.16:
	s_or_b64 exec, exec, s[0:1]
	v_and_b32_e32 v0, 15, v0
	v_cmp_eq_u32_e32 vcc, 0, v0
	s_and_saveexec_b64 s[0:1], vcc
	s_cbranch_execz .LBB22_18
; %bb.17:
	v_lshrrev_b32_e32 v0, 3, v2
	v_and_b32_e32 v0, 0x1ffffffe, v0
	global_store_short_d16_hi v0, v1, s[2:3]
.LBB22_18:
	s_endpgm
	.section	.rodata,"a",@progbits
	.p2align	6, 0x0
	.amdhsa_kernel _Z18warp_reduce_kernelI12hip_bfloat16Lj64ELj16EENSt9enable_ifIXsr10test_utilsE35device_test_enabled_for_warp_size_vIXT1_EEEvE4typeEPT_S5_
		.amdhsa_group_segment_fixed_size 0
		.amdhsa_private_segment_fixed_size 0
		.amdhsa_kernarg_size 272
		.amdhsa_user_sgpr_count 6
		.amdhsa_user_sgpr_private_segment_buffer 1
		.amdhsa_user_sgpr_dispatch_ptr 0
		.amdhsa_user_sgpr_queue_ptr 0
		.amdhsa_user_sgpr_kernarg_segment_ptr 1
		.amdhsa_user_sgpr_dispatch_id 0
		.amdhsa_user_sgpr_flat_scratch_init 0
		.amdhsa_user_sgpr_kernarg_preload_length 0
		.amdhsa_user_sgpr_kernarg_preload_offset 0
		.amdhsa_user_sgpr_private_segment_size 0
		.amdhsa_uses_dynamic_stack 0
		.amdhsa_system_sgpr_private_segment_wavefront_offset 0
		.amdhsa_system_sgpr_workgroup_id_x 1
		.amdhsa_system_sgpr_workgroup_id_y 0
		.amdhsa_system_sgpr_workgroup_id_z 0
		.amdhsa_system_sgpr_workgroup_info 0
		.amdhsa_system_vgpr_workitem_id 0
		.amdhsa_next_free_vgpr 8
		.amdhsa_next_free_sgpr 8
		.amdhsa_accum_offset 8
		.amdhsa_reserve_vcc 1
		.amdhsa_reserve_flat_scratch 0
		.amdhsa_float_round_mode_32 0
		.amdhsa_float_round_mode_16_64 0
		.amdhsa_float_denorm_mode_32 3
		.amdhsa_float_denorm_mode_16_64 3
		.amdhsa_dx10_clamp 1
		.amdhsa_ieee_mode 1
		.amdhsa_fp16_overflow 0
		.amdhsa_tg_split 0
		.amdhsa_exception_fp_ieee_invalid_op 0
		.amdhsa_exception_fp_denorm_src 0
		.amdhsa_exception_fp_ieee_div_zero 0
		.amdhsa_exception_fp_ieee_overflow 0
		.amdhsa_exception_fp_ieee_underflow 0
		.amdhsa_exception_fp_ieee_inexact 0
		.amdhsa_exception_int_div_zero 0
	.end_amdhsa_kernel
	.section	.text._Z18warp_reduce_kernelI12hip_bfloat16Lj64ELj16EENSt9enable_ifIXsr10test_utilsE35device_test_enabled_for_warp_size_vIXT1_EEEvE4typeEPT_S5_,"axG",@progbits,_Z18warp_reduce_kernelI12hip_bfloat16Lj64ELj16EENSt9enable_ifIXsr10test_utilsE35device_test_enabled_for_warp_size_vIXT1_EEEvE4typeEPT_S5_,comdat
.Lfunc_end22:
	.size	_Z18warp_reduce_kernelI12hip_bfloat16Lj64ELj16EENSt9enable_ifIXsr10test_utilsE35device_test_enabled_for_warp_size_vIXT1_EEEvE4typeEPT_S5_, .Lfunc_end22-_Z18warp_reduce_kernelI12hip_bfloat16Lj64ELj16EENSt9enable_ifIXsr10test_utilsE35device_test_enabled_for_warp_size_vIXT1_EEEvE4typeEPT_S5_
                                        ; -- End function
	.section	.AMDGPU.csdata,"",@progbits
; Kernel info:
; codeLenInByte = 660
; NumSgprs: 12
; NumVgprs: 8
; NumAgprs: 0
; TotalNumVgprs: 8
; ScratchSize: 0
; MemoryBound: 0
; FloatMode: 240
; IeeeMode: 1
; LDSByteSize: 0 bytes/workgroup (compile time only)
; SGPRBlocks: 1
; VGPRBlocks: 0
; NumSGPRsForWavesPerEU: 12
; NumVGPRsForWavesPerEU: 8
; AccumOffset: 8
; Occupancy: 8
; WaveLimiterHint : 0
; COMPUTE_PGM_RSRC2:SCRATCH_EN: 0
; COMPUTE_PGM_RSRC2:USER_SGPR: 6
; COMPUTE_PGM_RSRC2:TRAP_HANDLER: 0
; COMPUTE_PGM_RSRC2:TGID_X_EN: 1
; COMPUTE_PGM_RSRC2:TGID_Y_EN: 0
; COMPUTE_PGM_RSRC2:TGID_Z_EN: 0
; COMPUTE_PGM_RSRC2:TIDIG_COMP_CNT: 0
; COMPUTE_PGM_RSRC3_GFX90A:ACCUM_OFFSET: 1
; COMPUTE_PGM_RSRC3_GFX90A:TG_SPLIT: 0
	.section	.text._Z18warp_reduce_kernelI12hip_bfloat16Lj32ELj8EENSt9enable_ifIXsr10test_utilsE35device_test_enabled_for_warp_size_vIXT1_EEEvE4typeEPT_S5_,"axG",@progbits,_Z18warp_reduce_kernelI12hip_bfloat16Lj32ELj8EENSt9enable_ifIXsr10test_utilsE35device_test_enabled_for_warp_size_vIXT1_EEEvE4typeEPT_S5_,comdat
	.protected	_Z18warp_reduce_kernelI12hip_bfloat16Lj32ELj8EENSt9enable_ifIXsr10test_utilsE35device_test_enabled_for_warp_size_vIXT1_EEEvE4typeEPT_S5_ ; -- Begin function _Z18warp_reduce_kernelI12hip_bfloat16Lj32ELj8EENSt9enable_ifIXsr10test_utilsE35device_test_enabled_for_warp_size_vIXT1_EEEvE4typeEPT_S5_
	.globl	_Z18warp_reduce_kernelI12hip_bfloat16Lj32ELj8EENSt9enable_ifIXsr10test_utilsE35device_test_enabled_for_warp_size_vIXT1_EEEvE4typeEPT_S5_
	.p2align	8
	.type	_Z18warp_reduce_kernelI12hip_bfloat16Lj32ELj8EENSt9enable_ifIXsr10test_utilsE35device_test_enabled_for_warp_size_vIXT1_EEEvE4typeEPT_S5_,@function
_Z18warp_reduce_kernelI12hip_bfloat16Lj32ELj8EENSt9enable_ifIXsr10test_utilsE35device_test_enabled_for_warp_size_vIXT1_EEEvE4typeEPT_S5_: ; @_Z18warp_reduce_kernelI12hip_bfloat16Lj32ELj8EENSt9enable_ifIXsr10test_utilsE35device_test_enabled_for_warp_size_vIXT1_EEEvE4typeEPT_S5_
; %bb.0:
	s_load_dword s7, s[4:5], 0x1c
	s_load_dwordx4 s[0:3], s[4:5], 0x0
	v_mov_b32_e32 v3, 0
	s_waitcnt lgkmcnt(0)
	s_and_b32 s4, s7, 0xffff
	s_mul_i32 s6, s6, s4
	v_add_u32_e32 v2, s6, v0
	v_lshlrev_b64 v[4:5], 1, v[2:3]
	v_mov_b32_e32 v1, s1
	v_add_co_u32_e32 v4, vcc, s0, v4
	v_addc_co_u32_e32 v5, vcc, v1, v5, vcc
	global_load_ushort v4, v[4:5], off
	v_mbcnt_lo_u32_b32 v1, -1, 0
	v_mbcnt_hi_u32_b32 v1, -1, v1
	v_and_b32_e32 v3, 7, v1
	v_cmp_ne_u32_e32 vcc, 7, v3
	v_addc_co_u32_e32 v5, vcc, 0, v1, vcc
	v_lshlrev_b32_e32 v5, 2, v5
	s_mov_b32 s0, 0x7f800000
	s_waitcnt vmcnt(0)
	ds_bpermute_b32 v5, v5, v4
	v_lshlrev_b32_e32 v4, 16, v4
	s_waitcnt lgkmcnt(0)
	v_lshlrev_b32_e32 v6, 16, v5
	v_pk_add_f32 v[4:5], v[6:7], v[4:5] op_sel_hi:[0,1]
	v_and_b32_e32 v5, 0x7f800000, v4
	v_cmp_ne_u32_e32 vcc, s0, v5
                                        ; implicit-def: $vgpr6
	s_and_saveexec_b64 s[0:1], vcc
	s_xor_b64 s[0:1], exec, s[0:1]
; %bb.1:
	v_bfe_u32 v5, v4, 16, 1
	s_movk_i32 s4, 0x7fff
	v_add3_u32 v6, v4, v5, s4
                                        ; implicit-def: $vgpr4_vgpr5
; %bb.2:
	s_andn2_saveexec_b64 s[0:1], s[0:1]
; %bb.3:
	v_mov_b32_e32 v5, 0
	v_or_b32_e32 v6, 0x10000, v4
	v_cmp_eq_u32_sdwa vcc, v4, v5 src0_sel:WORD_0 src1_sel:DWORD
	v_cndmask_b32_e32 v6, v6, v4, vcc
; %bb.4:
	s_or_b64 exec, exec, s[0:1]
	v_cmp_gt_u32_e32 vcc, 6, v3
	v_cndmask_b32_e64 v5, 0, 1, vcc
	v_lshlrev_b32_e32 v5, 1, v5
	v_lshrrev_b32_e32 v4, 16, v6
	v_add_lshl_u32 v5, v5, v1, 2
	ds_bpermute_b32 v4, v5, v4
	v_and_b32_e32 v5, 0xffff0000, v6
	s_mov_b32 s0, 0x7f800000
	s_waitcnt lgkmcnt(0)
	v_lshlrev_b32_e32 v4, 16, v4
	v_add_f32_e32 v5, v5, v4
	v_and_b32_e32 v4, 0x7f800000, v5
	v_cmp_ne_u32_e32 vcc, s0, v4
                                        ; implicit-def: $vgpr4
	s_and_saveexec_b64 s[0:1], vcc
	s_xor_b64 s[0:1], exec, s[0:1]
; %bb.5:
	v_bfe_u32 v4, v5, 16, 1
	s_movk_i32 s4, 0x7fff
	v_add3_u32 v4, v5, v4, s4
                                        ; implicit-def: $vgpr5
; %bb.6:
	s_andn2_saveexec_b64 s[0:1], s[0:1]
; %bb.7:
	v_mov_b32_e32 v4, 0
	v_or_b32_e32 v6, 0x10000, v5
	v_cmp_eq_u32_sdwa vcc, v5, v4 src0_sel:WORD_0 src1_sel:DWORD
	v_cndmask_b32_e32 v4, v6, v5, vcc
; %bb.8:
	s_or_b64 exec, exec, s[0:1]
	v_cmp_gt_u32_e32 vcc, 4, v3
	v_cndmask_b32_e64 v3, 0, 1, vcc
	v_lshlrev_b32_e32 v3, 2, v3
	v_lshrrev_b32_e32 v5, 16, v4
	v_add_lshl_u32 v1, v3, v1, 2
	ds_bpermute_b32 v1, v1, v5
	v_and_b32_e32 v3, 0xffff0000, v4
	s_mov_b32 s0, 0x7f800000
	s_waitcnt lgkmcnt(0)
	v_lshlrev_b32_e32 v1, 16, v1
	v_add_f32_e32 v3, v3, v1
	v_and_b32_e32 v1, 0x7f800000, v3
	v_cmp_ne_u32_e32 vcc, s0, v1
                                        ; implicit-def: $vgpr1
	s_and_saveexec_b64 s[0:1], vcc
	s_xor_b64 s[0:1], exec, s[0:1]
; %bb.9:
	v_bfe_u32 v1, v3, 16, 1
	s_movk_i32 s4, 0x7fff
	v_add3_u32 v1, v3, v1, s4
                                        ; implicit-def: $vgpr3
; %bb.10:
	s_andn2_saveexec_b64 s[0:1], s[0:1]
; %bb.11:
	v_mov_b32_e32 v1, 0
	v_or_b32_e32 v4, 0x10000, v3
	v_cmp_eq_u32_sdwa vcc, v3, v1 src0_sel:WORD_0 src1_sel:DWORD
	v_cndmask_b32_e32 v1, v4, v3, vcc
; %bb.12:
	s_or_b64 exec, exec, s[0:1]
	v_and_b32_e32 v0, 7, v0
	v_cmp_eq_u32_e32 vcc, 0, v0
	s_and_saveexec_b64 s[0:1], vcc
	s_cbranch_execz .LBB23_14
; %bb.13:
	v_lshrrev_b32_e32 v0, 2, v2
	v_and_b32_e32 v0, 0x3ffffffe, v0
	global_store_short_d16_hi v0, v1, s[2:3]
.LBB23_14:
	s_endpgm
	.section	.rodata,"a",@progbits
	.p2align	6, 0x0
	.amdhsa_kernel _Z18warp_reduce_kernelI12hip_bfloat16Lj32ELj8EENSt9enable_ifIXsr10test_utilsE35device_test_enabled_for_warp_size_vIXT1_EEEvE4typeEPT_S5_
		.amdhsa_group_segment_fixed_size 0
		.amdhsa_private_segment_fixed_size 0
		.amdhsa_kernarg_size 272
		.amdhsa_user_sgpr_count 6
		.amdhsa_user_sgpr_private_segment_buffer 1
		.amdhsa_user_sgpr_dispatch_ptr 0
		.amdhsa_user_sgpr_queue_ptr 0
		.amdhsa_user_sgpr_kernarg_segment_ptr 1
		.amdhsa_user_sgpr_dispatch_id 0
		.amdhsa_user_sgpr_flat_scratch_init 0
		.amdhsa_user_sgpr_kernarg_preload_length 0
		.amdhsa_user_sgpr_kernarg_preload_offset 0
		.amdhsa_user_sgpr_private_segment_size 0
		.amdhsa_uses_dynamic_stack 0
		.amdhsa_system_sgpr_private_segment_wavefront_offset 0
		.amdhsa_system_sgpr_workgroup_id_x 1
		.amdhsa_system_sgpr_workgroup_id_y 0
		.amdhsa_system_sgpr_workgroup_id_z 0
		.amdhsa_system_sgpr_workgroup_info 0
		.amdhsa_system_vgpr_workitem_id 0
		.amdhsa_next_free_vgpr 8
		.amdhsa_next_free_sgpr 8
		.amdhsa_accum_offset 8
		.amdhsa_reserve_vcc 1
		.amdhsa_reserve_flat_scratch 0
		.amdhsa_float_round_mode_32 0
		.amdhsa_float_round_mode_16_64 0
		.amdhsa_float_denorm_mode_32 3
		.amdhsa_float_denorm_mode_16_64 3
		.amdhsa_dx10_clamp 1
		.amdhsa_ieee_mode 1
		.amdhsa_fp16_overflow 0
		.amdhsa_tg_split 0
		.amdhsa_exception_fp_ieee_invalid_op 0
		.amdhsa_exception_fp_denorm_src 0
		.amdhsa_exception_fp_ieee_div_zero 0
		.amdhsa_exception_fp_ieee_overflow 0
		.amdhsa_exception_fp_ieee_underflow 0
		.amdhsa_exception_fp_ieee_inexact 0
		.amdhsa_exception_int_div_zero 0
	.end_amdhsa_kernel
	.section	.text._Z18warp_reduce_kernelI12hip_bfloat16Lj32ELj8EENSt9enable_ifIXsr10test_utilsE35device_test_enabled_for_warp_size_vIXT1_EEEvE4typeEPT_S5_,"axG",@progbits,_Z18warp_reduce_kernelI12hip_bfloat16Lj32ELj8EENSt9enable_ifIXsr10test_utilsE35device_test_enabled_for_warp_size_vIXT1_EEEvE4typeEPT_S5_,comdat
.Lfunc_end23:
	.size	_Z18warp_reduce_kernelI12hip_bfloat16Lj32ELj8EENSt9enable_ifIXsr10test_utilsE35device_test_enabled_for_warp_size_vIXT1_EEEvE4typeEPT_S5_, .Lfunc_end23-_Z18warp_reduce_kernelI12hip_bfloat16Lj32ELj8EENSt9enable_ifIXsr10test_utilsE35device_test_enabled_for_warp_size_vIXT1_EEEvE4typeEPT_S5_
                                        ; -- End function
	.section	.AMDGPU.csdata,"",@progbits
; Kernel info:
; codeLenInByte = 524
; NumSgprs: 12
; NumVgprs: 8
; NumAgprs: 0
; TotalNumVgprs: 8
; ScratchSize: 0
; MemoryBound: 0
; FloatMode: 240
; IeeeMode: 1
; LDSByteSize: 0 bytes/workgroup (compile time only)
; SGPRBlocks: 1
; VGPRBlocks: 0
; NumSGPRsForWavesPerEU: 12
; NumVGPRsForWavesPerEU: 8
; AccumOffset: 8
; Occupancy: 8
; WaveLimiterHint : 0
; COMPUTE_PGM_RSRC2:SCRATCH_EN: 0
; COMPUTE_PGM_RSRC2:USER_SGPR: 6
; COMPUTE_PGM_RSRC2:TRAP_HANDLER: 0
; COMPUTE_PGM_RSRC2:TGID_X_EN: 1
; COMPUTE_PGM_RSRC2:TGID_Y_EN: 0
; COMPUTE_PGM_RSRC2:TGID_Z_EN: 0
; COMPUTE_PGM_RSRC2:TIDIG_COMP_CNT: 0
; COMPUTE_PGM_RSRC3_GFX90A:ACCUM_OFFSET: 1
; COMPUTE_PGM_RSRC3_GFX90A:TG_SPLIT: 0
	.section	.text._Z18warp_reduce_kernelI12hip_bfloat16Lj64ELj8EENSt9enable_ifIXsr10test_utilsE35device_test_enabled_for_warp_size_vIXT1_EEEvE4typeEPT_S5_,"axG",@progbits,_Z18warp_reduce_kernelI12hip_bfloat16Lj64ELj8EENSt9enable_ifIXsr10test_utilsE35device_test_enabled_for_warp_size_vIXT1_EEEvE4typeEPT_S5_,comdat
	.protected	_Z18warp_reduce_kernelI12hip_bfloat16Lj64ELj8EENSt9enable_ifIXsr10test_utilsE35device_test_enabled_for_warp_size_vIXT1_EEEvE4typeEPT_S5_ ; -- Begin function _Z18warp_reduce_kernelI12hip_bfloat16Lj64ELj8EENSt9enable_ifIXsr10test_utilsE35device_test_enabled_for_warp_size_vIXT1_EEEvE4typeEPT_S5_
	.globl	_Z18warp_reduce_kernelI12hip_bfloat16Lj64ELj8EENSt9enable_ifIXsr10test_utilsE35device_test_enabled_for_warp_size_vIXT1_EEEvE4typeEPT_S5_
	.p2align	8
	.type	_Z18warp_reduce_kernelI12hip_bfloat16Lj64ELj8EENSt9enable_ifIXsr10test_utilsE35device_test_enabled_for_warp_size_vIXT1_EEEvE4typeEPT_S5_,@function
_Z18warp_reduce_kernelI12hip_bfloat16Lj64ELj8EENSt9enable_ifIXsr10test_utilsE35device_test_enabled_for_warp_size_vIXT1_EEEvE4typeEPT_S5_: ; @_Z18warp_reduce_kernelI12hip_bfloat16Lj64ELj8EENSt9enable_ifIXsr10test_utilsE35device_test_enabled_for_warp_size_vIXT1_EEEvE4typeEPT_S5_
; %bb.0:
	s_load_dword s7, s[4:5], 0x1c
	s_load_dwordx4 s[0:3], s[4:5], 0x0
	v_mov_b32_e32 v3, 0
	s_waitcnt lgkmcnt(0)
	s_and_b32 s4, s7, 0xffff
	s_mul_i32 s6, s6, s4
	v_add_u32_e32 v2, s6, v0
	v_lshlrev_b64 v[4:5], 1, v[2:3]
	v_mov_b32_e32 v1, s1
	v_add_co_u32_e32 v4, vcc, s0, v4
	v_addc_co_u32_e32 v5, vcc, v1, v5, vcc
	global_load_ushort v4, v[4:5], off
	v_mbcnt_lo_u32_b32 v1, -1, 0
	v_mbcnt_hi_u32_b32 v1, -1, v1
	v_and_b32_e32 v3, 7, v1
	v_cmp_ne_u32_e32 vcc, 7, v3
	v_addc_co_u32_e32 v5, vcc, 0, v1, vcc
	v_lshlrev_b32_e32 v5, 2, v5
	s_mov_b32 s0, 0x7f800000
	s_waitcnt vmcnt(0)
	ds_bpermute_b32 v5, v5, v4
	v_lshlrev_b32_e32 v4, 16, v4
	s_waitcnt lgkmcnt(0)
	v_lshlrev_b32_e32 v6, 16, v5
	v_pk_add_f32 v[4:5], v[6:7], v[4:5] op_sel_hi:[0,1]
	v_and_b32_e32 v5, 0x7f800000, v4
	v_cmp_ne_u32_e32 vcc, s0, v5
                                        ; implicit-def: $vgpr6
	s_and_saveexec_b64 s[0:1], vcc
	s_xor_b64 s[0:1], exec, s[0:1]
; %bb.1:
	v_bfe_u32 v5, v4, 16, 1
	s_movk_i32 s4, 0x7fff
	v_add3_u32 v6, v4, v5, s4
                                        ; implicit-def: $vgpr4_vgpr5
; %bb.2:
	s_andn2_saveexec_b64 s[0:1], s[0:1]
; %bb.3:
	v_mov_b32_e32 v5, 0
	v_or_b32_e32 v6, 0x10000, v4
	v_cmp_eq_u32_sdwa vcc, v4, v5 src0_sel:WORD_0 src1_sel:DWORD
	v_cndmask_b32_e32 v6, v6, v4, vcc
; %bb.4:
	s_or_b64 exec, exec, s[0:1]
	v_cmp_gt_u32_e32 vcc, 6, v3
	v_cndmask_b32_e64 v5, 0, 1, vcc
	v_lshlrev_b32_e32 v5, 1, v5
	v_lshrrev_b32_e32 v4, 16, v6
	v_add_lshl_u32 v5, v5, v1, 2
	ds_bpermute_b32 v4, v5, v4
	v_and_b32_e32 v5, 0xffff0000, v6
	s_mov_b32 s0, 0x7f800000
	s_waitcnt lgkmcnt(0)
	v_lshlrev_b32_e32 v4, 16, v4
	v_add_f32_e32 v5, v5, v4
	v_and_b32_e32 v4, 0x7f800000, v5
	v_cmp_ne_u32_e32 vcc, s0, v4
                                        ; implicit-def: $vgpr4
	s_and_saveexec_b64 s[0:1], vcc
	s_xor_b64 s[0:1], exec, s[0:1]
; %bb.5:
	v_bfe_u32 v4, v5, 16, 1
	s_movk_i32 s4, 0x7fff
	v_add3_u32 v4, v5, v4, s4
                                        ; implicit-def: $vgpr5
; %bb.6:
	s_andn2_saveexec_b64 s[0:1], s[0:1]
; %bb.7:
	v_mov_b32_e32 v4, 0
	v_or_b32_e32 v6, 0x10000, v5
	v_cmp_eq_u32_sdwa vcc, v5, v4 src0_sel:WORD_0 src1_sel:DWORD
	v_cndmask_b32_e32 v4, v6, v5, vcc
; %bb.8:
	s_or_b64 exec, exec, s[0:1]
	v_cmp_gt_u32_e32 vcc, 4, v3
	v_cndmask_b32_e64 v3, 0, 1, vcc
	v_lshlrev_b32_e32 v3, 2, v3
	v_lshrrev_b32_e32 v5, 16, v4
	v_add_lshl_u32 v1, v3, v1, 2
	ds_bpermute_b32 v1, v1, v5
	v_and_b32_e32 v3, 0xffff0000, v4
	s_mov_b32 s0, 0x7f800000
	s_waitcnt lgkmcnt(0)
	v_lshlrev_b32_e32 v1, 16, v1
	v_add_f32_e32 v3, v3, v1
	v_and_b32_e32 v1, 0x7f800000, v3
	v_cmp_ne_u32_e32 vcc, s0, v1
                                        ; implicit-def: $vgpr1
	s_and_saveexec_b64 s[0:1], vcc
	s_xor_b64 s[0:1], exec, s[0:1]
; %bb.9:
	v_bfe_u32 v1, v3, 16, 1
	s_movk_i32 s4, 0x7fff
	v_add3_u32 v1, v3, v1, s4
                                        ; implicit-def: $vgpr3
; %bb.10:
	s_andn2_saveexec_b64 s[0:1], s[0:1]
; %bb.11:
	v_mov_b32_e32 v1, 0
	v_or_b32_e32 v4, 0x10000, v3
	v_cmp_eq_u32_sdwa vcc, v3, v1 src0_sel:WORD_0 src1_sel:DWORD
	v_cndmask_b32_e32 v1, v4, v3, vcc
; %bb.12:
	s_or_b64 exec, exec, s[0:1]
	v_and_b32_e32 v0, 7, v0
	v_cmp_eq_u32_e32 vcc, 0, v0
	s_and_saveexec_b64 s[0:1], vcc
	s_cbranch_execz .LBB24_14
; %bb.13:
	v_lshrrev_b32_e32 v0, 2, v2
	v_and_b32_e32 v0, 0x3ffffffe, v0
	global_store_short_d16_hi v0, v1, s[2:3]
.LBB24_14:
	s_endpgm
	.section	.rodata,"a",@progbits
	.p2align	6, 0x0
	.amdhsa_kernel _Z18warp_reduce_kernelI12hip_bfloat16Lj64ELj8EENSt9enable_ifIXsr10test_utilsE35device_test_enabled_for_warp_size_vIXT1_EEEvE4typeEPT_S5_
		.amdhsa_group_segment_fixed_size 0
		.amdhsa_private_segment_fixed_size 0
		.amdhsa_kernarg_size 272
		.amdhsa_user_sgpr_count 6
		.amdhsa_user_sgpr_private_segment_buffer 1
		.amdhsa_user_sgpr_dispatch_ptr 0
		.amdhsa_user_sgpr_queue_ptr 0
		.amdhsa_user_sgpr_kernarg_segment_ptr 1
		.amdhsa_user_sgpr_dispatch_id 0
		.amdhsa_user_sgpr_flat_scratch_init 0
		.amdhsa_user_sgpr_kernarg_preload_length 0
		.amdhsa_user_sgpr_kernarg_preload_offset 0
		.amdhsa_user_sgpr_private_segment_size 0
		.amdhsa_uses_dynamic_stack 0
		.amdhsa_system_sgpr_private_segment_wavefront_offset 0
		.amdhsa_system_sgpr_workgroup_id_x 1
		.amdhsa_system_sgpr_workgroup_id_y 0
		.amdhsa_system_sgpr_workgroup_id_z 0
		.amdhsa_system_sgpr_workgroup_info 0
		.amdhsa_system_vgpr_workitem_id 0
		.amdhsa_next_free_vgpr 8
		.amdhsa_next_free_sgpr 8
		.amdhsa_accum_offset 8
		.amdhsa_reserve_vcc 1
		.amdhsa_reserve_flat_scratch 0
		.amdhsa_float_round_mode_32 0
		.amdhsa_float_round_mode_16_64 0
		.amdhsa_float_denorm_mode_32 3
		.amdhsa_float_denorm_mode_16_64 3
		.amdhsa_dx10_clamp 1
		.amdhsa_ieee_mode 1
		.amdhsa_fp16_overflow 0
		.amdhsa_tg_split 0
		.amdhsa_exception_fp_ieee_invalid_op 0
		.amdhsa_exception_fp_denorm_src 0
		.amdhsa_exception_fp_ieee_div_zero 0
		.amdhsa_exception_fp_ieee_overflow 0
		.amdhsa_exception_fp_ieee_underflow 0
		.amdhsa_exception_fp_ieee_inexact 0
		.amdhsa_exception_int_div_zero 0
	.end_amdhsa_kernel
	.section	.text._Z18warp_reduce_kernelI12hip_bfloat16Lj64ELj8EENSt9enable_ifIXsr10test_utilsE35device_test_enabled_for_warp_size_vIXT1_EEEvE4typeEPT_S5_,"axG",@progbits,_Z18warp_reduce_kernelI12hip_bfloat16Lj64ELj8EENSt9enable_ifIXsr10test_utilsE35device_test_enabled_for_warp_size_vIXT1_EEEvE4typeEPT_S5_,comdat
.Lfunc_end24:
	.size	_Z18warp_reduce_kernelI12hip_bfloat16Lj64ELj8EENSt9enable_ifIXsr10test_utilsE35device_test_enabled_for_warp_size_vIXT1_EEEvE4typeEPT_S5_, .Lfunc_end24-_Z18warp_reduce_kernelI12hip_bfloat16Lj64ELj8EENSt9enable_ifIXsr10test_utilsE35device_test_enabled_for_warp_size_vIXT1_EEEvE4typeEPT_S5_
                                        ; -- End function
	.section	.AMDGPU.csdata,"",@progbits
; Kernel info:
; codeLenInByte = 524
; NumSgprs: 12
; NumVgprs: 8
; NumAgprs: 0
; TotalNumVgprs: 8
; ScratchSize: 0
; MemoryBound: 0
; FloatMode: 240
; IeeeMode: 1
; LDSByteSize: 0 bytes/workgroup (compile time only)
; SGPRBlocks: 1
; VGPRBlocks: 0
; NumSGPRsForWavesPerEU: 12
; NumVGPRsForWavesPerEU: 8
; AccumOffset: 8
; Occupancy: 8
; WaveLimiterHint : 0
; COMPUTE_PGM_RSRC2:SCRATCH_EN: 0
; COMPUTE_PGM_RSRC2:USER_SGPR: 6
; COMPUTE_PGM_RSRC2:TRAP_HANDLER: 0
; COMPUTE_PGM_RSRC2:TGID_X_EN: 1
; COMPUTE_PGM_RSRC2:TGID_Y_EN: 0
; COMPUTE_PGM_RSRC2:TGID_Z_EN: 0
; COMPUTE_PGM_RSRC2:TIDIG_COMP_CNT: 0
; COMPUTE_PGM_RSRC3_GFX90A:ACCUM_OFFSET: 1
; COMPUTE_PGM_RSRC3_GFX90A:TG_SPLIT: 0
	.section	.text._Z18warp_reduce_kernelI12hip_bfloat16Lj32ELj4EENSt9enable_ifIXsr10test_utilsE35device_test_enabled_for_warp_size_vIXT1_EEEvE4typeEPT_S5_,"axG",@progbits,_Z18warp_reduce_kernelI12hip_bfloat16Lj32ELj4EENSt9enable_ifIXsr10test_utilsE35device_test_enabled_for_warp_size_vIXT1_EEEvE4typeEPT_S5_,comdat
	.protected	_Z18warp_reduce_kernelI12hip_bfloat16Lj32ELj4EENSt9enable_ifIXsr10test_utilsE35device_test_enabled_for_warp_size_vIXT1_EEEvE4typeEPT_S5_ ; -- Begin function _Z18warp_reduce_kernelI12hip_bfloat16Lj32ELj4EENSt9enable_ifIXsr10test_utilsE35device_test_enabled_for_warp_size_vIXT1_EEEvE4typeEPT_S5_
	.globl	_Z18warp_reduce_kernelI12hip_bfloat16Lj32ELj4EENSt9enable_ifIXsr10test_utilsE35device_test_enabled_for_warp_size_vIXT1_EEEvE4typeEPT_S5_
	.p2align	8
	.type	_Z18warp_reduce_kernelI12hip_bfloat16Lj32ELj4EENSt9enable_ifIXsr10test_utilsE35device_test_enabled_for_warp_size_vIXT1_EEEvE4typeEPT_S5_,@function
_Z18warp_reduce_kernelI12hip_bfloat16Lj32ELj4EENSt9enable_ifIXsr10test_utilsE35device_test_enabled_for_warp_size_vIXT1_EEEvE4typeEPT_S5_: ; @_Z18warp_reduce_kernelI12hip_bfloat16Lj32ELj4EENSt9enable_ifIXsr10test_utilsE35device_test_enabled_for_warp_size_vIXT1_EEEvE4typeEPT_S5_
; %bb.0:
	s_load_dword s7, s[4:5], 0x1c
	s_load_dwordx4 s[0:3], s[4:5], 0x0
	v_mov_b32_e32 v3, 0
	s_waitcnt lgkmcnt(0)
	s_and_b32 s4, s7, 0xffff
	s_mul_i32 s6, s6, s4
	v_add_u32_e32 v2, s6, v0
	v_lshlrev_b64 v[4:5], 1, v[2:3]
	v_mov_b32_e32 v1, s1
	v_add_co_u32_e32 v4, vcc, s0, v4
	v_addc_co_u32_e32 v5, vcc, v1, v5, vcc
	global_load_ushort v4, v[4:5], off
	v_mbcnt_lo_u32_b32 v1, -1, 0
	v_mbcnt_hi_u32_b32 v1, -1, v1
	v_and_b32_e32 v3, 3, v1
	v_cmp_ne_u32_e32 vcc, 3, v3
	v_addc_co_u32_e32 v5, vcc, 0, v1, vcc
	v_lshlrev_b32_e32 v5, 2, v5
	s_mov_b32 s0, 0x7f800000
	s_waitcnt vmcnt(0)
	ds_bpermute_b32 v5, v5, v4
	v_lshlrev_b32_e32 v4, 16, v4
	s_waitcnt lgkmcnt(0)
	v_lshlrev_b32_e32 v6, 16, v5
	v_pk_add_f32 v[4:5], v[6:7], v[4:5] op_sel_hi:[0,1]
	v_and_b32_e32 v5, 0x7f800000, v4
	v_cmp_ne_u32_e32 vcc, s0, v5
                                        ; implicit-def: $vgpr6
	s_and_saveexec_b64 s[0:1], vcc
	s_xor_b64 s[0:1], exec, s[0:1]
; %bb.1:
	v_bfe_u32 v5, v4, 16, 1
	s_movk_i32 s4, 0x7fff
	v_add3_u32 v6, v4, v5, s4
                                        ; implicit-def: $vgpr4_vgpr5
; %bb.2:
	s_andn2_saveexec_b64 s[0:1], s[0:1]
; %bb.3:
	v_mov_b32_e32 v5, 0
	v_or_b32_e32 v6, 0x10000, v4
	v_cmp_eq_u32_sdwa vcc, v4, v5 src0_sel:WORD_0 src1_sel:DWORD
	v_cndmask_b32_e32 v6, v6, v4, vcc
; %bb.4:
	s_or_b64 exec, exec, s[0:1]
	v_cmp_gt_u32_e32 vcc, 2, v3
	v_cndmask_b32_e64 v3, 0, 1, vcc
	v_lshlrev_b32_e32 v3, 1, v3
	v_lshrrev_b32_e32 v4, 16, v6
	v_add_lshl_u32 v1, v3, v1, 2
	ds_bpermute_b32 v1, v1, v4
	v_and_b32_e32 v3, 0xffff0000, v6
	s_mov_b32 s0, 0x7f800000
	s_waitcnt lgkmcnt(0)
	v_lshlrev_b32_e32 v1, 16, v1
	v_add_f32_e32 v3, v3, v1
	v_and_b32_e32 v1, 0x7f800000, v3
	v_cmp_ne_u32_e32 vcc, s0, v1
                                        ; implicit-def: $vgpr1
	s_and_saveexec_b64 s[0:1], vcc
	s_xor_b64 s[0:1], exec, s[0:1]
; %bb.5:
	v_bfe_u32 v1, v3, 16, 1
	s_movk_i32 s4, 0x7fff
	v_add3_u32 v1, v3, v1, s4
                                        ; implicit-def: $vgpr3
; %bb.6:
	s_andn2_saveexec_b64 s[0:1], s[0:1]
; %bb.7:
	v_mov_b32_e32 v1, 0
	v_or_b32_e32 v4, 0x10000, v3
	v_cmp_eq_u32_sdwa vcc, v3, v1 src0_sel:WORD_0 src1_sel:DWORD
	v_cndmask_b32_e32 v1, v4, v3, vcc
; %bb.8:
	s_or_b64 exec, exec, s[0:1]
	v_and_b32_e32 v0, 3, v0
	v_cmp_eq_u32_e32 vcc, 0, v0
	s_and_saveexec_b64 s[0:1], vcc
	s_cbranch_execz .LBB25_10
; %bb.9:
	v_lshrrev_b32_e32 v0, 1, v2
	v_and_b32_e32 v0, 0x7ffffffe, v0
	global_store_short_d16_hi v0, v1, s[2:3]
.LBB25_10:
	s_endpgm
	.section	.rodata,"a",@progbits
	.p2align	6, 0x0
	.amdhsa_kernel _Z18warp_reduce_kernelI12hip_bfloat16Lj32ELj4EENSt9enable_ifIXsr10test_utilsE35device_test_enabled_for_warp_size_vIXT1_EEEvE4typeEPT_S5_
		.amdhsa_group_segment_fixed_size 0
		.amdhsa_private_segment_fixed_size 0
		.amdhsa_kernarg_size 272
		.amdhsa_user_sgpr_count 6
		.amdhsa_user_sgpr_private_segment_buffer 1
		.amdhsa_user_sgpr_dispatch_ptr 0
		.amdhsa_user_sgpr_queue_ptr 0
		.amdhsa_user_sgpr_kernarg_segment_ptr 1
		.amdhsa_user_sgpr_dispatch_id 0
		.amdhsa_user_sgpr_flat_scratch_init 0
		.amdhsa_user_sgpr_kernarg_preload_length 0
		.amdhsa_user_sgpr_kernarg_preload_offset 0
		.amdhsa_user_sgpr_private_segment_size 0
		.amdhsa_uses_dynamic_stack 0
		.amdhsa_system_sgpr_private_segment_wavefront_offset 0
		.amdhsa_system_sgpr_workgroup_id_x 1
		.amdhsa_system_sgpr_workgroup_id_y 0
		.amdhsa_system_sgpr_workgroup_id_z 0
		.amdhsa_system_sgpr_workgroup_info 0
		.amdhsa_system_vgpr_workitem_id 0
		.amdhsa_next_free_vgpr 8
		.amdhsa_next_free_sgpr 8
		.amdhsa_accum_offset 8
		.amdhsa_reserve_vcc 1
		.amdhsa_reserve_flat_scratch 0
		.amdhsa_float_round_mode_32 0
		.amdhsa_float_round_mode_16_64 0
		.amdhsa_float_denorm_mode_32 3
		.amdhsa_float_denorm_mode_16_64 3
		.amdhsa_dx10_clamp 1
		.amdhsa_ieee_mode 1
		.amdhsa_fp16_overflow 0
		.amdhsa_tg_split 0
		.amdhsa_exception_fp_ieee_invalid_op 0
		.amdhsa_exception_fp_denorm_src 0
		.amdhsa_exception_fp_ieee_div_zero 0
		.amdhsa_exception_fp_ieee_overflow 0
		.amdhsa_exception_fp_ieee_underflow 0
		.amdhsa_exception_fp_ieee_inexact 0
		.amdhsa_exception_int_div_zero 0
	.end_amdhsa_kernel
	.section	.text._Z18warp_reduce_kernelI12hip_bfloat16Lj32ELj4EENSt9enable_ifIXsr10test_utilsE35device_test_enabled_for_warp_size_vIXT1_EEEvE4typeEPT_S5_,"axG",@progbits,_Z18warp_reduce_kernelI12hip_bfloat16Lj32ELj4EENSt9enable_ifIXsr10test_utilsE35device_test_enabled_for_warp_size_vIXT1_EEEvE4typeEPT_S5_,comdat
.Lfunc_end25:
	.size	_Z18warp_reduce_kernelI12hip_bfloat16Lj32ELj4EENSt9enable_ifIXsr10test_utilsE35device_test_enabled_for_warp_size_vIXT1_EEEvE4typeEPT_S5_, .Lfunc_end25-_Z18warp_reduce_kernelI12hip_bfloat16Lj32ELj4EENSt9enable_ifIXsr10test_utilsE35device_test_enabled_for_warp_size_vIXT1_EEEvE4typeEPT_S5_
                                        ; -- End function
	.section	.AMDGPU.csdata,"",@progbits
; Kernel info:
; codeLenInByte = 388
; NumSgprs: 12
; NumVgprs: 8
; NumAgprs: 0
; TotalNumVgprs: 8
; ScratchSize: 0
; MemoryBound: 0
; FloatMode: 240
; IeeeMode: 1
; LDSByteSize: 0 bytes/workgroup (compile time only)
; SGPRBlocks: 1
; VGPRBlocks: 0
; NumSGPRsForWavesPerEU: 12
; NumVGPRsForWavesPerEU: 8
; AccumOffset: 8
; Occupancy: 8
; WaveLimiterHint : 0
; COMPUTE_PGM_RSRC2:SCRATCH_EN: 0
; COMPUTE_PGM_RSRC2:USER_SGPR: 6
; COMPUTE_PGM_RSRC2:TRAP_HANDLER: 0
; COMPUTE_PGM_RSRC2:TGID_X_EN: 1
; COMPUTE_PGM_RSRC2:TGID_Y_EN: 0
; COMPUTE_PGM_RSRC2:TGID_Z_EN: 0
; COMPUTE_PGM_RSRC2:TIDIG_COMP_CNT: 0
; COMPUTE_PGM_RSRC3_GFX90A:ACCUM_OFFSET: 1
; COMPUTE_PGM_RSRC3_GFX90A:TG_SPLIT: 0
	.section	.text._Z18warp_reduce_kernelI12hip_bfloat16Lj64ELj4EENSt9enable_ifIXsr10test_utilsE35device_test_enabled_for_warp_size_vIXT1_EEEvE4typeEPT_S5_,"axG",@progbits,_Z18warp_reduce_kernelI12hip_bfloat16Lj64ELj4EENSt9enable_ifIXsr10test_utilsE35device_test_enabled_for_warp_size_vIXT1_EEEvE4typeEPT_S5_,comdat
	.protected	_Z18warp_reduce_kernelI12hip_bfloat16Lj64ELj4EENSt9enable_ifIXsr10test_utilsE35device_test_enabled_for_warp_size_vIXT1_EEEvE4typeEPT_S5_ ; -- Begin function _Z18warp_reduce_kernelI12hip_bfloat16Lj64ELj4EENSt9enable_ifIXsr10test_utilsE35device_test_enabled_for_warp_size_vIXT1_EEEvE4typeEPT_S5_
	.globl	_Z18warp_reduce_kernelI12hip_bfloat16Lj64ELj4EENSt9enable_ifIXsr10test_utilsE35device_test_enabled_for_warp_size_vIXT1_EEEvE4typeEPT_S5_
	.p2align	8
	.type	_Z18warp_reduce_kernelI12hip_bfloat16Lj64ELj4EENSt9enable_ifIXsr10test_utilsE35device_test_enabled_for_warp_size_vIXT1_EEEvE4typeEPT_S5_,@function
_Z18warp_reduce_kernelI12hip_bfloat16Lj64ELj4EENSt9enable_ifIXsr10test_utilsE35device_test_enabled_for_warp_size_vIXT1_EEEvE4typeEPT_S5_: ; @_Z18warp_reduce_kernelI12hip_bfloat16Lj64ELj4EENSt9enable_ifIXsr10test_utilsE35device_test_enabled_for_warp_size_vIXT1_EEEvE4typeEPT_S5_
; %bb.0:
	s_load_dword s7, s[4:5], 0x1c
	s_load_dwordx4 s[0:3], s[4:5], 0x0
	v_mov_b32_e32 v3, 0
	s_waitcnt lgkmcnt(0)
	s_and_b32 s4, s7, 0xffff
	s_mul_i32 s6, s6, s4
	v_add_u32_e32 v2, s6, v0
	v_lshlrev_b64 v[4:5], 1, v[2:3]
	v_mov_b32_e32 v1, s1
	v_add_co_u32_e32 v4, vcc, s0, v4
	v_addc_co_u32_e32 v5, vcc, v1, v5, vcc
	global_load_ushort v4, v[4:5], off
	v_mbcnt_lo_u32_b32 v1, -1, 0
	v_mbcnt_hi_u32_b32 v1, -1, v1
	v_and_b32_e32 v3, 3, v1
	v_cmp_ne_u32_e32 vcc, 3, v3
	v_addc_co_u32_e32 v5, vcc, 0, v1, vcc
	v_lshlrev_b32_e32 v5, 2, v5
	s_mov_b32 s0, 0x7f800000
	s_waitcnt vmcnt(0)
	ds_bpermute_b32 v5, v5, v4
	v_lshlrev_b32_e32 v4, 16, v4
	s_waitcnt lgkmcnt(0)
	v_lshlrev_b32_e32 v6, 16, v5
	v_pk_add_f32 v[4:5], v[6:7], v[4:5] op_sel_hi:[0,1]
	v_and_b32_e32 v5, 0x7f800000, v4
	v_cmp_ne_u32_e32 vcc, s0, v5
                                        ; implicit-def: $vgpr6
	s_and_saveexec_b64 s[0:1], vcc
	s_xor_b64 s[0:1], exec, s[0:1]
; %bb.1:
	v_bfe_u32 v5, v4, 16, 1
	s_movk_i32 s4, 0x7fff
	v_add3_u32 v6, v4, v5, s4
                                        ; implicit-def: $vgpr4_vgpr5
; %bb.2:
	s_andn2_saveexec_b64 s[0:1], s[0:1]
; %bb.3:
	v_mov_b32_e32 v5, 0
	v_or_b32_e32 v6, 0x10000, v4
	v_cmp_eq_u32_sdwa vcc, v4, v5 src0_sel:WORD_0 src1_sel:DWORD
	v_cndmask_b32_e32 v6, v6, v4, vcc
; %bb.4:
	s_or_b64 exec, exec, s[0:1]
	v_cmp_gt_u32_e32 vcc, 2, v3
	v_cndmask_b32_e64 v3, 0, 1, vcc
	v_lshlrev_b32_e32 v3, 1, v3
	v_lshrrev_b32_e32 v4, 16, v6
	v_add_lshl_u32 v1, v3, v1, 2
	ds_bpermute_b32 v1, v1, v4
	v_and_b32_e32 v3, 0xffff0000, v6
	s_mov_b32 s0, 0x7f800000
	s_waitcnt lgkmcnt(0)
	v_lshlrev_b32_e32 v1, 16, v1
	v_add_f32_e32 v3, v3, v1
	v_and_b32_e32 v1, 0x7f800000, v3
	v_cmp_ne_u32_e32 vcc, s0, v1
                                        ; implicit-def: $vgpr1
	s_and_saveexec_b64 s[0:1], vcc
	s_xor_b64 s[0:1], exec, s[0:1]
; %bb.5:
	v_bfe_u32 v1, v3, 16, 1
	s_movk_i32 s4, 0x7fff
	v_add3_u32 v1, v3, v1, s4
                                        ; implicit-def: $vgpr3
; %bb.6:
	s_andn2_saveexec_b64 s[0:1], s[0:1]
; %bb.7:
	v_mov_b32_e32 v1, 0
	v_or_b32_e32 v4, 0x10000, v3
	v_cmp_eq_u32_sdwa vcc, v3, v1 src0_sel:WORD_0 src1_sel:DWORD
	v_cndmask_b32_e32 v1, v4, v3, vcc
; %bb.8:
	s_or_b64 exec, exec, s[0:1]
	v_and_b32_e32 v0, 3, v0
	v_cmp_eq_u32_e32 vcc, 0, v0
	s_and_saveexec_b64 s[0:1], vcc
	s_cbranch_execz .LBB26_10
; %bb.9:
	v_lshrrev_b32_e32 v0, 1, v2
	v_and_b32_e32 v0, 0x7ffffffe, v0
	global_store_short_d16_hi v0, v1, s[2:3]
.LBB26_10:
	s_endpgm
	.section	.rodata,"a",@progbits
	.p2align	6, 0x0
	.amdhsa_kernel _Z18warp_reduce_kernelI12hip_bfloat16Lj64ELj4EENSt9enable_ifIXsr10test_utilsE35device_test_enabled_for_warp_size_vIXT1_EEEvE4typeEPT_S5_
		.amdhsa_group_segment_fixed_size 0
		.amdhsa_private_segment_fixed_size 0
		.amdhsa_kernarg_size 272
		.amdhsa_user_sgpr_count 6
		.amdhsa_user_sgpr_private_segment_buffer 1
		.amdhsa_user_sgpr_dispatch_ptr 0
		.amdhsa_user_sgpr_queue_ptr 0
		.amdhsa_user_sgpr_kernarg_segment_ptr 1
		.amdhsa_user_sgpr_dispatch_id 0
		.amdhsa_user_sgpr_flat_scratch_init 0
		.amdhsa_user_sgpr_kernarg_preload_length 0
		.amdhsa_user_sgpr_kernarg_preload_offset 0
		.amdhsa_user_sgpr_private_segment_size 0
		.amdhsa_uses_dynamic_stack 0
		.amdhsa_system_sgpr_private_segment_wavefront_offset 0
		.amdhsa_system_sgpr_workgroup_id_x 1
		.amdhsa_system_sgpr_workgroup_id_y 0
		.amdhsa_system_sgpr_workgroup_id_z 0
		.amdhsa_system_sgpr_workgroup_info 0
		.amdhsa_system_vgpr_workitem_id 0
		.amdhsa_next_free_vgpr 8
		.amdhsa_next_free_sgpr 8
		.amdhsa_accum_offset 8
		.amdhsa_reserve_vcc 1
		.amdhsa_reserve_flat_scratch 0
		.amdhsa_float_round_mode_32 0
		.amdhsa_float_round_mode_16_64 0
		.amdhsa_float_denorm_mode_32 3
		.amdhsa_float_denorm_mode_16_64 3
		.amdhsa_dx10_clamp 1
		.amdhsa_ieee_mode 1
		.amdhsa_fp16_overflow 0
		.amdhsa_tg_split 0
		.amdhsa_exception_fp_ieee_invalid_op 0
		.amdhsa_exception_fp_denorm_src 0
		.amdhsa_exception_fp_ieee_div_zero 0
		.amdhsa_exception_fp_ieee_overflow 0
		.amdhsa_exception_fp_ieee_underflow 0
		.amdhsa_exception_fp_ieee_inexact 0
		.amdhsa_exception_int_div_zero 0
	.end_amdhsa_kernel
	.section	.text._Z18warp_reduce_kernelI12hip_bfloat16Lj64ELj4EENSt9enable_ifIXsr10test_utilsE35device_test_enabled_for_warp_size_vIXT1_EEEvE4typeEPT_S5_,"axG",@progbits,_Z18warp_reduce_kernelI12hip_bfloat16Lj64ELj4EENSt9enable_ifIXsr10test_utilsE35device_test_enabled_for_warp_size_vIXT1_EEEvE4typeEPT_S5_,comdat
.Lfunc_end26:
	.size	_Z18warp_reduce_kernelI12hip_bfloat16Lj64ELj4EENSt9enable_ifIXsr10test_utilsE35device_test_enabled_for_warp_size_vIXT1_EEEvE4typeEPT_S5_, .Lfunc_end26-_Z18warp_reduce_kernelI12hip_bfloat16Lj64ELj4EENSt9enable_ifIXsr10test_utilsE35device_test_enabled_for_warp_size_vIXT1_EEEvE4typeEPT_S5_
                                        ; -- End function
	.section	.AMDGPU.csdata,"",@progbits
; Kernel info:
; codeLenInByte = 388
; NumSgprs: 12
; NumVgprs: 8
; NumAgprs: 0
; TotalNumVgprs: 8
; ScratchSize: 0
; MemoryBound: 0
; FloatMode: 240
; IeeeMode: 1
; LDSByteSize: 0 bytes/workgroup (compile time only)
; SGPRBlocks: 1
; VGPRBlocks: 0
; NumSGPRsForWavesPerEU: 12
; NumVGPRsForWavesPerEU: 8
; AccumOffset: 8
; Occupancy: 8
; WaveLimiterHint : 0
; COMPUTE_PGM_RSRC2:SCRATCH_EN: 0
; COMPUTE_PGM_RSRC2:USER_SGPR: 6
; COMPUTE_PGM_RSRC2:TRAP_HANDLER: 0
; COMPUTE_PGM_RSRC2:TGID_X_EN: 1
; COMPUTE_PGM_RSRC2:TGID_Y_EN: 0
; COMPUTE_PGM_RSRC2:TGID_Z_EN: 0
; COMPUTE_PGM_RSRC2:TIDIG_COMP_CNT: 0
; COMPUTE_PGM_RSRC3_GFX90A:ACCUM_OFFSET: 1
; COMPUTE_PGM_RSRC3_GFX90A:TG_SPLIT: 0
	.section	.text._Z18warp_reduce_kernelI12hip_bfloat16Lj32ELj2EENSt9enable_ifIXsr10test_utilsE35device_test_enabled_for_warp_size_vIXT1_EEEvE4typeEPT_S5_,"axG",@progbits,_Z18warp_reduce_kernelI12hip_bfloat16Lj32ELj2EENSt9enable_ifIXsr10test_utilsE35device_test_enabled_for_warp_size_vIXT1_EEEvE4typeEPT_S5_,comdat
	.protected	_Z18warp_reduce_kernelI12hip_bfloat16Lj32ELj2EENSt9enable_ifIXsr10test_utilsE35device_test_enabled_for_warp_size_vIXT1_EEEvE4typeEPT_S5_ ; -- Begin function _Z18warp_reduce_kernelI12hip_bfloat16Lj32ELj2EENSt9enable_ifIXsr10test_utilsE35device_test_enabled_for_warp_size_vIXT1_EEEvE4typeEPT_S5_
	.globl	_Z18warp_reduce_kernelI12hip_bfloat16Lj32ELj2EENSt9enable_ifIXsr10test_utilsE35device_test_enabled_for_warp_size_vIXT1_EEEvE4typeEPT_S5_
	.p2align	8
	.type	_Z18warp_reduce_kernelI12hip_bfloat16Lj32ELj2EENSt9enable_ifIXsr10test_utilsE35device_test_enabled_for_warp_size_vIXT1_EEEvE4typeEPT_S5_,@function
_Z18warp_reduce_kernelI12hip_bfloat16Lj32ELj2EENSt9enable_ifIXsr10test_utilsE35device_test_enabled_for_warp_size_vIXT1_EEEvE4typeEPT_S5_: ; @_Z18warp_reduce_kernelI12hip_bfloat16Lj32ELj2EENSt9enable_ifIXsr10test_utilsE35device_test_enabled_for_warp_size_vIXT1_EEEvE4typeEPT_S5_
; %bb.0:
	s_load_dword s7, s[4:5], 0x1c
	s_load_dwordx4 s[0:3], s[4:5], 0x0
	v_mov_b32_e32 v3, 0
	s_waitcnt lgkmcnt(0)
	s_and_b32 s4, s7, 0xffff
	s_mul_i32 s6, s6, s4
	v_add_u32_e32 v2, s6, v0
	v_lshlrev_b64 v[4:5], 1, v[2:3]
	v_mov_b32_e32 v1, s1
	v_add_co_u32_e32 v4, vcc, s0, v4
	v_addc_co_u32_e32 v5, vcc, v1, v5, vcc
	global_load_ushort v1, v[4:5], off
	v_mbcnt_lo_u32_b32 v3, -1, 0
	v_mbcnt_hi_u32_b32 v3, -1, v3
	v_lshl_or_b32 v3, v3, 2, 4
	s_mov_b32 s0, 0x7f800000
	s_waitcnt vmcnt(0)
	ds_bpermute_b32 v3, v3, v1
	v_lshlrev_b32_e32 v4, 16, v1
	s_waitcnt lgkmcnt(0)
	v_lshlrev_b32_e32 v6, 16, v3
	v_pk_add_f32 v[4:5], v[6:7], v[4:5] op_sel_hi:[0,1]
	v_and_b32_e32 v1, 0x7f800000, v4
	v_cmp_ne_u32_e32 vcc, s0, v1
                                        ; implicit-def: $vgpr1
	s_and_saveexec_b64 s[0:1], vcc
	s_xor_b64 s[0:1], exec, s[0:1]
; %bb.1:
	v_bfe_u32 v1, v4, 16, 1
	s_movk_i32 s4, 0x7fff
	v_add3_u32 v1, v4, v1, s4
                                        ; implicit-def: $vgpr4_vgpr5
; %bb.2:
	s_andn2_saveexec_b64 s[0:1], s[0:1]
; %bb.3:
	v_mov_b32_e32 v1, 0
	v_or_b32_e32 v3, 0x10000, v4
	v_cmp_eq_u32_sdwa vcc, v4, v1 src0_sel:WORD_0 src1_sel:DWORD
	v_cndmask_b32_e32 v1, v3, v4, vcc
; %bb.4:
	s_or_b64 exec, exec, s[0:1]
	v_and_b32_e32 v0, 1, v0
	v_cmp_eq_u32_e32 vcc, 0, v0
	s_and_saveexec_b64 s[0:1], vcc
	s_cbranch_execz .LBB27_6
; %bb.5:
	v_and_b32_e32 v0, -2, v2
	global_store_short_d16_hi v0, v1, s[2:3]
.LBB27_6:
	s_endpgm
	.section	.rodata,"a",@progbits
	.p2align	6, 0x0
	.amdhsa_kernel _Z18warp_reduce_kernelI12hip_bfloat16Lj32ELj2EENSt9enable_ifIXsr10test_utilsE35device_test_enabled_for_warp_size_vIXT1_EEEvE4typeEPT_S5_
		.amdhsa_group_segment_fixed_size 0
		.amdhsa_private_segment_fixed_size 0
		.amdhsa_kernarg_size 272
		.amdhsa_user_sgpr_count 6
		.amdhsa_user_sgpr_private_segment_buffer 1
		.amdhsa_user_sgpr_dispatch_ptr 0
		.amdhsa_user_sgpr_queue_ptr 0
		.amdhsa_user_sgpr_kernarg_segment_ptr 1
		.amdhsa_user_sgpr_dispatch_id 0
		.amdhsa_user_sgpr_flat_scratch_init 0
		.amdhsa_user_sgpr_kernarg_preload_length 0
		.amdhsa_user_sgpr_kernarg_preload_offset 0
		.amdhsa_user_sgpr_private_segment_size 0
		.amdhsa_uses_dynamic_stack 0
		.amdhsa_system_sgpr_private_segment_wavefront_offset 0
		.amdhsa_system_sgpr_workgroup_id_x 1
		.amdhsa_system_sgpr_workgroup_id_y 0
		.amdhsa_system_sgpr_workgroup_id_z 0
		.amdhsa_system_sgpr_workgroup_info 0
		.amdhsa_system_vgpr_workitem_id 0
		.amdhsa_next_free_vgpr 8
		.amdhsa_next_free_sgpr 8
		.amdhsa_accum_offset 8
		.amdhsa_reserve_vcc 1
		.amdhsa_reserve_flat_scratch 0
		.amdhsa_float_round_mode_32 0
		.amdhsa_float_round_mode_16_64 0
		.amdhsa_float_denorm_mode_32 3
		.amdhsa_float_denorm_mode_16_64 3
		.amdhsa_dx10_clamp 1
		.amdhsa_ieee_mode 1
		.amdhsa_fp16_overflow 0
		.amdhsa_tg_split 0
		.amdhsa_exception_fp_ieee_invalid_op 0
		.amdhsa_exception_fp_denorm_src 0
		.amdhsa_exception_fp_ieee_div_zero 0
		.amdhsa_exception_fp_ieee_overflow 0
		.amdhsa_exception_fp_ieee_underflow 0
		.amdhsa_exception_fp_ieee_inexact 0
		.amdhsa_exception_int_div_zero 0
	.end_amdhsa_kernel
	.section	.text._Z18warp_reduce_kernelI12hip_bfloat16Lj32ELj2EENSt9enable_ifIXsr10test_utilsE35device_test_enabled_for_warp_size_vIXT1_EEEvE4typeEPT_S5_,"axG",@progbits,_Z18warp_reduce_kernelI12hip_bfloat16Lj32ELj2EENSt9enable_ifIXsr10test_utilsE35device_test_enabled_for_warp_size_vIXT1_EEEvE4typeEPT_S5_,comdat
.Lfunc_end27:
	.size	_Z18warp_reduce_kernelI12hip_bfloat16Lj32ELj2EENSt9enable_ifIXsr10test_utilsE35device_test_enabled_for_warp_size_vIXT1_EEEvE4typeEPT_S5_, .Lfunc_end27-_Z18warp_reduce_kernelI12hip_bfloat16Lj32ELj2EENSt9enable_ifIXsr10test_utilsE35device_test_enabled_for_warp_size_vIXT1_EEEvE4typeEPT_S5_
                                        ; -- End function
	.section	.AMDGPU.csdata,"",@progbits
; Kernel info:
; codeLenInByte = 236
; NumSgprs: 12
; NumVgprs: 8
; NumAgprs: 0
; TotalNumVgprs: 8
; ScratchSize: 0
; MemoryBound: 0
; FloatMode: 240
; IeeeMode: 1
; LDSByteSize: 0 bytes/workgroup (compile time only)
; SGPRBlocks: 1
; VGPRBlocks: 0
; NumSGPRsForWavesPerEU: 12
; NumVGPRsForWavesPerEU: 8
; AccumOffset: 8
; Occupancy: 8
; WaveLimiterHint : 0
; COMPUTE_PGM_RSRC2:SCRATCH_EN: 0
; COMPUTE_PGM_RSRC2:USER_SGPR: 6
; COMPUTE_PGM_RSRC2:TRAP_HANDLER: 0
; COMPUTE_PGM_RSRC2:TGID_X_EN: 1
; COMPUTE_PGM_RSRC2:TGID_Y_EN: 0
; COMPUTE_PGM_RSRC2:TGID_Z_EN: 0
; COMPUTE_PGM_RSRC2:TIDIG_COMP_CNT: 0
; COMPUTE_PGM_RSRC3_GFX90A:ACCUM_OFFSET: 1
; COMPUTE_PGM_RSRC3_GFX90A:TG_SPLIT: 0
	.section	.text._Z18warp_reduce_kernelI12hip_bfloat16Lj64ELj2EENSt9enable_ifIXsr10test_utilsE35device_test_enabled_for_warp_size_vIXT1_EEEvE4typeEPT_S5_,"axG",@progbits,_Z18warp_reduce_kernelI12hip_bfloat16Lj64ELj2EENSt9enable_ifIXsr10test_utilsE35device_test_enabled_for_warp_size_vIXT1_EEEvE4typeEPT_S5_,comdat
	.protected	_Z18warp_reduce_kernelI12hip_bfloat16Lj64ELj2EENSt9enable_ifIXsr10test_utilsE35device_test_enabled_for_warp_size_vIXT1_EEEvE4typeEPT_S5_ ; -- Begin function _Z18warp_reduce_kernelI12hip_bfloat16Lj64ELj2EENSt9enable_ifIXsr10test_utilsE35device_test_enabled_for_warp_size_vIXT1_EEEvE4typeEPT_S5_
	.globl	_Z18warp_reduce_kernelI12hip_bfloat16Lj64ELj2EENSt9enable_ifIXsr10test_utilsE35device_test_enabled_for_warp_size_vIXT1_EEEvE4typeEPT_S5_
	.p2align	8
	.type	_Z18warp_reduce_kernelI12hip_bfloat16Lj64ELj2EENSt9enable_ifIXsr10test_utilsE35device_test_enabled_for_warp_size_vIXT1_EEEvE4typeEPT_S5_,@function
_Z18warp_reduce_kernelI12hip_bfloat16Lj64ELj2EENSt9enable_ifIXsr10test_utilsE35device_test_enabled_for_warp_size_vIXT1_EEEvE4typeEPT_S5_: ; @_Z18warp_reduce_kernelI12hip_bfloat16Lj64ELj2EENSt9enable_ifIXsr10test_utilsE35device_test_enabled_for_warp_size_vIXT1_EEEvE4typeEPT_S5_
; %bb.0:
	s_load_dword s7, s[4:5], 0x1c
	s_load_dwordx4 s[0:3], s[4:5], 0x0
	v_mov_b32_e32 v3, 0
	s_waitcnt lgkmcnt(0)
	s_and_b32 s4, s7, 0xffff
	s_mul_i32 s6, s6, s4
	v_add_u32_e32 v2, s6, v0
	v_lshlrev_b64 v[4:5], 1, v[2:3]
	v_mov_b32_e32 v1, s1
	v_add_co_u32_e32 v4, vcc, s0, v4
	v_addc_co_u32_e32 v5, vcc, v1, v5, vcc
	global_load_ushort v1, v[4:5], off
	v_mbcnt_lo_u32_b32 v3, -1, 0
	v_mbcnt_hi_u32_b32 v3, -1, v3
	v_lshl_or_b32 v3, v3, 2, 4
	s_mov_b32 s0, 0x7f800000
	s_waitcnt vmcnt(0)
	ds_bpermute_b32 v3, v3, v1
	v_lshlrev_b32_e32 v4, 16, v1
	s_waitcnt lgkmcnt(0)
	v_lshlrev_b32_e32 v6, 16, v3
	v_pk_add_f32 v[4:5], v[6:7], v[4:5] op_sel_hi:[0,1]
	v_and_b32_e32 v1, 0x7f800000, v4
	v_cmp_ne_u32_e32 vcc, s0, v1
                                        ; implicit-def: $vgpr1
	s_and_saveexec_b64 s[0:1], vcc
	s_xor_b64 s[0:1], exec, s[0:1]
; %bb.1:
	v_bfe_u32 v1, v4, 16, 1
	s_movk_i32 s4, 0x7fff
	v_add3_u32 v1, v4, v1, s4
                                        ; implicit-def: $vgpr4_vgpr5
; %bb.2:
	s_andn2_saveexec_b64 s[0:1], s[0:1]
; %bb.3:
	v_mov_b32_e32 v1, 0
	v_or_b32_e32 v3, 0x10000, v4
	v_cmp_eq_u32_sdwa vcc, v4, v1 src0_sel:WORD_0 src1_sel:DWORD
	v_cndmask_b32_e32 v1, v3, v4, vcc
; %bb.4:
	s_or_b64 exec, exec, s[0:1]
	v_and_b32_e32 v0, 1, v0
	v_cmp_eq_u32_e32 vcc, 0, v0
	s_and_saveexec_b64 s[0:1], vcc
	s_cbranch_execz .LBB28_6
; %bb.5:
	v_and_b32_e32 v0, -2, v2
	global_store_short_d16_hi v0, v1, s[2:3]
.LBB28_6:
	s_endpgm
	.section	.rodata,"a",@progbits
	.p2align	6, 0x0
	.amdhsa_kernel _Z18warp_reduce_kernelI12hip_bfloat16Lj64ELj2EENSt9enable_ifIXsr10test_utilsE35device_test_enabled_for_warp_size_vIXT1_EEEvE4typeEPT_S5_
		.amdhsa_group_segment_fixed_size 0
		.amdhsa_private_segment_fixed_size 0
		.amdhsa_kernarg_size 272
		.amdhsa_user_sgpr_count 6
		.amdhsa_user_sgpr_private_segment_buffer 1
		.amdhsa_user_sgpr_dispatch_ptr 0
		.amdhsa_user_sgpr_queue_ptr 0
		.amdhsa_user_sgpr_kernarg_segment_ptr 1
		.amdhsa_user_sgpr_dispatch_id 0
		.amdhsa_user_sgpr_flat_scratch_init 0
		.amdhsa_user_sgpr_kernarg_preload_length 0
		.amdhsa_user_sgpr_kernarg_preload_offset 0
		.amdhsa_user_sgpr_private_segment_size 0
		.amdhsa_uses_dynamic_stack 0
		.amdhsa_system_sgpr_private_segment_wavefront_offset 0
		.amdhsa_system_sgpr_workgroup_id_x 1
		.amdhsa_system_sgpr_workgroup_id_y 0
		.amdhsa_system_sgpr_workgroup_id_z 0
		.amdhsa_system_sgpr_workgroup_info 0
		.amdhsa_system_vgpr_workitem_id 0
		.amdhsa_next_free_vgpr 8
		.amdhsa_next_free_sgpr 8
		.amdhsa_accum_offset 8
		.amdhsa_reserve_vcc 1
		.amdhsa_reserve_flat_scratch 0
		.amdhsa_float_round_mode_32 0
		.amdhsa_float_round_mode_16_64 0
		.amdhsa_float_denorm_mode_32 3
		.amdhsa_float_denorm_mode_16_64 3
		.amdhsa_dx10_clamp 1
		.amdhsa_ieee_mode 1
		.amdhsa_fp16_overflow 0
		.amdhsa_tg_split 0
		.amdhsa_exception_fp_ieee_invalid_op 0
		.amdhsa_exception_fp_denorm_src 0
		.amdhsa_exception_fp_ieee_div_zero 0
		.amdhsa_exception_fp_ieee_overflow 0
		.amdhsa_exception_fp_ieee_underflow 0
		.amdhsa_exception_fp_ieee_inexact 0
		.amdhsa_exception_int_div_zero 0
	.end_amdhsa_kernel
	.section	.text._Z18warp_reduce_kernelI12hip_bfloat16Lj64ELj2EENSt9enable_ifIXsr10test_utilsE35device_test_enabled_for_warp_size_vIXT1_EEEvE4typeEPT_S5_,"axG",@progbits,_Z18warp_reduce_kernelI12hip_bfloat16Lj64ELj2EENSt9enable_ifIXsr10test_utilsE35device_test_enabled_for_warp_size_vIXT1_EEEvE4typeEPT_S5_,comdat
.Lfunc_end28:
	.size	_Z18warp_reduce_kernelI12hip_bfloat16Lj64ELj2EENSt9enable_ifIXsr10test_utilsE35device_test_enabled_for_warp_size_vIXT1_EEEvE4typeEPT_S5_, .Lfunc_end28-_Z18warp_reduce_kernelI12hip_bfloat16Lj64ELj2EENSt9enable_ifIXsr10test_utilsE35device_test_enabled_for_warp_size_vIXT1_EEEvE4typeEPT_S5_
                                        ; -- End function
	.section	.AMDGPU.csdata,"",@progbits
; Kernel info:
; codeLenInByte = 236
; NumSgprs: 12
; NumVgprs: 8
; NumAgprs: 0
; TotalNumVgprs: 8
; ScratchSize: 0
; MemoryBound: 0
; FloatMode: 240
; IeeeMode: 1
; LDSByteSize: 0 bytes/workgroup (compile time only)
; SGPRBlocks: 1
; VGPRBlocks: 0
; NumSGPRsForWavesPerEU: 12
; NumVGPRsForWavesPerEU: 8
; AccumOffset: 8
; Occupancy: 8
; WaveLimiterHint : 0
; COMPUTE_PGM_RSRC2:SCRATCH_EN: 0
; COMPUTE_PGM_RSRC2:USER_SGPR: 6
; COMPUTE_PGM_RSRC2:TRAP_HANDLER: 0
; COMPUTE_PGM_RSRC2:TGID_X_EN: 1
; COMPUTE_PGM_RSRC2:TGID_Y_EN: 0
; COMPUTE_PGM_RSRC2:TGID_Z_EN: 0
; COMPUTE_PGM_RSRC2:TIDIG_COMP_CNT: 0
; COMPUTE_PGM_RSRC3_GFX90A:ACCUM_OFFSET: 1
; COMPUTE_PGM_RSRC3_GFX90A:TG_SPLIT: 0
	.section	.text._Z18warp_reduce_kernelI12hip_bfloat16Lj32ELj1EENSt9enable_ifIXsr10test_utilsE35device_test_enabled_for_warp_size_vIXT1_EEEvE4typeEPT_S5_,"axG",@progbits,_Z18warp_reduce_kernelI12hip_bfloat16Lj32ELj1EENSt9enable_ifIXsr10test_utilsE35device_test_enabled_for_warp_size_vIXT1_EEEvE4typeEPT_S5_,comdat
	.protected	_Z18warp_reduce_kernelI12hip_bfloat16Lj32ELj1EENSt9enable_ifIXsr10test_utilsE35device_test_enabled_for_warp_size_vIXT1_EEEvE4typeEPT_S5_ ; -- Begin function _Z18warp_reduce_kernelI12hip_bfloat16Lj32ELj1EENSt9enable_ifIXsr10test_utilsE35device_test_enabled_for_warp_size_vIXT1_EEEvE4typeEPT_S5_
	.globl	_Z18warp_reduce_kernelI12hip_bfloat16Lj32ELj1EENSt9enable_ifIXsr10test_utilsE35device_test_enabled_for_warp_size_vIXT1_EEEvE4typeEPT_S5_
	.p2align	8
	.type	_Z18warp_reduce_kernelI12hip_bfloat16Lj32ELj1EENSt9enable_ifIXsr10test_utilsE35device_test_enabled_for_warp_size_vIXT1_EEEvE4typeEPT_S5_,@function
_Z18warp_reduce_kernelI12hip_bfloat16Lj32ELj1EENSt9enable_ifIXsr10test_utilsE35device_test_enabled_for_warp_size_vIXT1_EEEvE4typeEPT_S5_: ; @_Z18warp_reduce_kernelI12hip_bfloat16Lj32ELj1EENSt9enable_ifIXsr10test_utilsE35device_test_enabled_for_warp_size_vIXT1_EEEvE4typeEPT_S5_
; %bb.0:
	s_load_dword s7, s[4:5], 0x1c
	s_load_dwordx4 s[0:3], s[4:5], 0x0
	v_mov_b32_e32 v1, 0
	s_waitcnt lgkmcnt(0)
	s_and_b32 s4, s7, 0xffff
	s_mul_i32 s6, s6, s4
	v_add_u32_e32 v0, s6, v0
	v_lshlrev_b64 v[0:1], 1, v[0:1]
	v_mov_b32_e32 v3, s1
	v_add_co_u32_e32 v2, vcc, s0, v0
	v_addc_co_u32_e32 v3, vcc, v3, v1, vcc
	global_load_ushort v2, v[2:3], off
	v_mov_b32_e32 v3, s3
	v_add_co_u32_e32 v0, vcc, s2, v0
	v_addc_co_u32_e32 v1, vcc, v3, v1, vcc
	s_waitcnt vmcnt(0)
	global_store_short v[0:1], v2, off
	s_endpgm
	.section	.rodata,"a",@progbits
	.p2align	6, 0x0
	.amdhsa_kernel _Z18warp_reduce_kernelI12hip_bfloat16Lj32ELj1EENSt9enable_ifIXsr10test_utilsE35device_test_enabled_for_warp_size_vIXT1_EEEvE4typeEPT_S5_
		.amdhsa_group_segment_fixed_size 0
		.amdhsa_private_segment_fixed_size 0
		.amdhsa_kernarg_size 272
		.amdhsa_user_sgpr_count 6
		.amdhsa_user_sgpr_private_segment_buffer 1
		.amdhsa_user_sgpr_dispatch_ptr 0
		.amdhsa_user_sgpr_queue_ptr 0
		.amdhsa_user_sgpr_kernarg_segment_ptr 1
		.amdhsa_user_sgpr_dispatch_id 0
		.amdhsa_user_sgpr_flat_scratch_init 0
		.amdhsa_user_sgpr_kernarg_preload_length 0
		.amdhsa_user_sgpr_kernarg_preload_offset 0
		.amdhsa_user_sgpr_private_segment_size 0
		.amdhsa_uses_dynamic_stack 0
		.amdhsa_system_sgpr_private_segment_wavefront_offset 0
		.amdhsa_system_sgpr_workgroup_id_x 1
		.amdhsa_system_sgpr_workgroup_id_y 0
		.amdhsa_system_sgpr_workgroup_id_z 0
		.amdhsa_system_sgpr_workgroup_info 0
		.amdhsa_system_vgpr_workitem_id 0
		.amdhsa_next_free_vgpr 4
		.amdhsa_next_free_sgpr 8
		.amdhsa_accum_offset 4
		.amdhsa_reserve_vcc 1
		.amdhsa_reserve_flat_scratch 0
		.amdhsa_float_round_mode_32 0
		.amdhsa_float_round_mode_16_64 0
		.amdhsa_float_denorm_mode_32 3
		.amdhsa_float_denorm_mode_16_64 3
		.amdhsa_dx10_clamp 1
		.amdhsa_ieee_mode 1
		.amdhsa_fp16_overflow 0
		.amdhsa_tg_split 0
		.amdhsa_exception_fp_ieee_invalid_op 0
		.amdhsa_exception_fp_denorm_src 0
		.amdhsa_exception_fp_ieee_div_zero 0
		.amdhsa_exception_fp_ieee_overflow 0
		.amdhsa_exception_fp_ieee_underflow 0
		.amdhsa_exception_fp_ieee_inexact 0
		.amdhsa_exception_int_div_zero 0
	.end_amdhsa_kernel
	.section	.text._Z18warp_reduce_kernelI12hip_bfloat16Lj32ELj1EENSt9enable_ifIXsr10test_utilsE35device_test_enabled_for_warp_size_vIXT1_EEEvE4typeEPT_S5_,"axG",@progbits,_Z18warp_reduce_kernelI12hip_bfloat16Lj32ELj1EENSt9enable_ifIXsr10test_utilsE35device_test_enabled_for_warp_size_vIXT1_EEEvE4typeEPT_S5_,comdat
.Lfunc_end29:
	.size	_Z18warp_reduce_kernelI12hip_bfloat16Lj32ELj1EENSt9enable_ifIXsr10test_utilsE35device_test_enabled_for_warp_size_vIXT1_EEEvE4typeEPT_S5_, .Lfunc_end29-_Z18warp_reduce_kernelI12hip_bfloat16Lj32ELj1EENSt9enable_ifIXsr10test_utilsE35device_test_enabled_for_warp_size_vIXT1_EEEvE4typeEPT_S5_
                                        ; -- End function
	.section	.AMDGPU.csdata,"",@progbits
; Kernel info:
; codeLenInByte = 96
; NumSgprs: 12
; NumVgprs: 4
; NumAgprs: 0
; TotalNumVgprs: 4
; ScratchSize: 0
; MemoryBound: 0
; FloatMode: 240
; IeeeMode: 1
; LDSByteSize: 0 bytes/workgroup (compile time only)
; SGPRBlocks: 1
; VGPRBlocks: 0
; NumSGPRsForWavesPerEU: 12
; NumVGPRsForWavesPerEU: 4
; AccumOffset: 4
; Occupancy: 8
; WaveLimiterHint : 0
; COMPUTE_PGM_RSRC2:SCRATCH_EN: 0
; COMPUTE_PGM_RSRC2:USER_SGPR: 6
; COMPUTE_PGM_RSRC2:TRAP_HANDLER: 0
; COMPUTE_PGM_RSRC2:TGID_X_EN: 1
; COMPUTE_PGM_RSRC2:TGID_Y_EN: 0
; COMPUTE_PGM_RSRC2:TGID_Z_EN: 0
; COMPUTE_PGM_RSRC2:TIDIG_COMP_CNT: 0
; COMPUTE_PGM_RSRC3_GFX90A:ACCUM_OFFSET: 0
; COMPUTE_PGM_RSRC3_GFX90A:TG_SPLIT: 0
	.section	.text._Z18warp_reduce_kernelI12hip_bfloat16Lj64ELj1EENSt9enable_ifIXsr10test_utilsE35device_test_enabled_for_warp_size_vIXT1_EEEvE4typeEPT_S5_,"axG",@progbits,_Z18warp_reduce_kernelI12hip_bfloat16Lj64ELj1EENSt9enable_ifIXsr10test_utilsE35device_test_enabled_for_warp_size_vIXT1_EEEvE4typeEPT_S5_,comdat
	.protected	_Z18warp_reduce_kernelI12hip_bfloat16Lj64ELj1EENSt9enable_ifIXsr10test_utilsE35device_test_enabled_for_warp_size_vIXT1_EEEvE4typeEPT_S5_ ; -- Begin function _Z18warp_reduce_kernelI12hip_bfloat16Lj64ELj1EENSt9enable_ifIXsr10test_utilsE35device_test_enabled_for_warp_size_vIXT1_EEEvE4typeEPT_S5_
	.globl	_Z18warp_reduce_kernelI12hip_bfloat16Lj64ELj1EENSt9enable_ifIXsr10test_utilsE35device_test_enabled_for_warp_size_vIXT1_EEEvE4typeEPT_S5_
	.p2align	8
	.type	_Z18warp_reduce_kernelI12hip_bfloat16Lj64ELj1EENSt9enable_ifIXsr10test_utilsE35device_test_enabled_for_warp_size_vIXT1_EEEvE4typeEPT_S5_,@function
_Z18warp_reduce_kernelI12hip_bfloat16Lj64ELj1EENSt9enable_ifIXsr10test_utilsE35device_test_enabled_for_warp_size_vIXT1_EEEvE4typeEPT_S5_: ; @_Z18warp_reduce_kernelI12hip_bfloat16Lj64ELj1EENSt9enable_ifIXsr10test_utilsE35device_test_enabled_for_warp_size_vIXT1_EEEvE4typeEPT_S5_
; %bb.0:
	s_load_dword s7, s[4:5], 0x1c
	s_load_dwordx4 s[0:3], s[4:5], 0x0
	v_mov_b32_e32 v1, 0
	s_waitcnt lgkmcnt(0)
	s_and_b32 s4, s7, 0xffff
	s_mul_i32 s6, s6, s4
	v_add_u32_e32 v0, s6, v0
	v_lshlrev_b64 v[0:1], 1, v[0:1]
	v_mov_b32_e32 v3, s1
	v_add_co_u32_e32 v2, vcc, s0, v0
	v_addc_co_u32_e32 v3, vcc, v3, v1, vcc
	global_load_ushort v2, v[2:3], off
	v_mov_b32_e32 v3, s3
	v_add_co_u32_e32 v0, vcc, s2, v0
	v_addc_co_u32_e32 v1, vcc, v3, v1, vcc
	s_waitcnt vmcnt(0)
	global_store_short v[0:1], v2, off
	s_endpgm
	.section	.rodata,"a",@progbits
	.p2align	6, 0x0
	.amdhsa_kernel _Z18warp_reduce_kernelI12hip_bfloat16Lj64ELj1EENSt9enable_ifIXsr10test_utilsE35device_test_enabled_for_warp_size_vIXT1_EEEvE4typeEPT_S5_
		.amdhsa_group_segment_fixed_size 0
		.amdhsa_private_segment_fixed_size 0
		.amdhsa_kernarg_size 272
		.amdhsa_user_sgpr_count 6
		.amdhsa_user_sgpr_private_segment_buffer 1
		.amdhsa_user_sgpr_dispatch_ptr 0
		.amdhsa_user_sgpr_queue_ptr 0
		.amdhsa_user_sgpr_kernarg_segment_ptr 1
		.amdhsa_user_sgpr_dispatch_id 0
		.amdhsa_user_sgpr_flat_scratch_init 0
		.amdhsa_user_sgpr_kernarg_preload_length 0
		.amdhsa_user_sgpr_kernarg_preload_offset 0
		.amdhsa_user_sgpr_private_segment_size 0
		.amdhsa_uses_dynamic_stack 0
		.amdhsa_system_sgpr_private_segment_wavefront_offset 0
		.amdhsa_system_sgpr_workgroup_id_x 1
		.amdhsa_system_sgpr_workgroup_id_y 0
		.amdhsa_system_sgpr_workgroup_id_z 0
		.amdhsa_system_sgpr_workgroup_info 0
		.amdhsa_system_vgpr_workitem_id 0
		.amdhsa_next_free_vgpr 4
		.amdhsa_next_free_sgpr 8
		.amdhsa_accum_offset 4
		.amdhsa_reserve_vcc 1
		.amdhsa_reserve_flat_scratch 0
		.amdhsa_float_round_mode_32 0
		.amdhsa_float_round_mode_16_64 0
		.amdhsa_float_denorm_mode_32 3
		.amdhsa_float_denorm_mode_16_64 3
		.amdhsa_dx10_clamp 1
		.amdhsa_ieee_mode 1
		.amdhsa_fp16_overflow 0
		.amdhsa_tg_split 0
		.amdhsa_exception_fp_ieee_invalid_op 0
		.amdhsa_exception_fp_denorm_src 0
		.amdhsa_exception_fp_ieee_div_zero 0
		.amdhsa_exception_fp_ieee_overflow 0
		.amdhsa_exception_fp_ieee_underflow 0
		.amdhsa_exception_fp_ieee_inexact 0
		.amdhsa_exception_int_div_zero 0
	.end_amdhsa_kernel
	.section	.text._Z18warp_reduce_kernelI12hip_bfloat16Lj64ELj1EENSt9enable_ifIXsr10test_utilsE35device_test_enabled_for_warp_size_vIXT1_EEEvE4typeEPT_S5_,"axG",@progbits,_Z18warp_reduce_kernelI12hip_bfloat16Lj64ELj1EENSt9enable_ifIXsr10test_utilsE35device_test_enabled_for_warp_size_vIXT1_EEEvE4typeEPT_S5_,comdat
.Lfunc_end30:
	.size	_Z18warp_reduce_kernelI12hip_bfloat16Lj64ELj1EENSt9enable_ifIXsr10test_utilsE35device_test_enabled_for_warp_size_vIXT1_EEEvE4typeEPT_S5_, .Lfunc_end30-_Z18warp_reduce_kernelI12hip_bfloat16Lj64ELj1EENSt9enable_ifIXsr10test_utilsE35device_test_enabled_for_warp_size_vIXT1_EEEvE4typeEPT_S5_
                                        ; -- End function
	.section	.AMDGPU.csdata,"",@progbits
; Kernel info:
; codeLenInByte = 96
; NumSgprs: 12
; NumVgprs: 4
; NumAgprs: 0
; TotalNumVgprs: 4
; ScratchSize: 0
; MemoryBound: 0
; FloatMode: 240
; IeeeMode: 1
; LDSByteSize: 0 bytes/workgroup (compile time only)
; SGPRBlocks: 1
; VGPRBlocks: 0
; NumSGPRsForWavesPerEU: 12
; NumVGPRsForWavesPerEU: 4
; AccumOffset: 4
; Occupancy: 8
; WaveLimiterHint : 0
; COMPUTE_PGM_RSRC2:SCRATCH_EN: 0
; COMPUTE_PGM_RSRC2:USER_SGPR: 6
; COMPUTE_PGM_RSRC2:TRAP_HANDLER: 0
; COMPUTE_PGM_RSRC2:TGID_X_EN: 1
; COMPUTE_PGM_RSRC2:TGID_Y_EN: 0
; COMPUTE_PGM_RSRC2:TGID_Z_EN: 0
; COMPUTE_PGM_RSRC2:TIDIG_COMP_CNT: 0
; COMPUTE_PGM_RSRC3_GFX90A:ACCUM_OFFSET: 0
; COMPUTE_PGM_RSRC3_GFX90A:TG_SPLIT: 0
	.section	.text._Z18warp_reduce_kernelI6__halfLj256ELj64EENSt9enable_ifIXsr10test_utilsE35device_test_enabled_for_warp_size_vIXT1_EEEvE4typeEPT_S5_,"axG",@progbits,_Z18warp_reduce_kernelI6__halfLj256ELj64EENSt9enable_ifIXsr10test_utilsE35device_test_enabled_for_warp_size_vIXT1_EEEvE4typeEPT_S5_,comdat
	.protected	_Z18warp_reduce_kernelI6__halfLj256ELj64EENSt9enable_ifIXsr10test_utilsE35device_test_enabled_for_warp_size_vIXT1_EEEvE4typeEPT_S5_ ; -- Begin function _Z18warp_reduce_kernelI6__halfLj256ELj64EENSt9enable_ifIXsr10test_utilsE35device_test_enabled_for_warp_size_vIXT1_EEEvE4typeEPT_S5_
	.globl	_Z18warp_reduce_kernelI6__halfLj256ELj64EENSt9enable_ifIXsr10test_utilsE35device_test_enabled_for_warp_size_vIXT1_EEEvE4typeEPT_S5_
	.p2align	8
	.type	_Z18warp_reduce_kernelI6__halfLj256ELj64EENSt9enable_ifIXsr10test_utilsE35device_test_enabled_for_warp_size_vIXT1_EEEvE4typeEPT_S5_,@function
_Z18warp_reduce_kernelI6__halfLj256ELj64EENSt9enable_ifIXsr10test_utilsE35device_test_enabled_for_warp_size_vIXT1_EEEvE4typeEPT_S5_: ; @_Z18warp_reduce_kernelI6__halfLj256ELj64EENSt9enable_ifIXsr10test_utilsE35device_test_enabled_for_warp_size_vIXT1_EEEvE4typeEPT_S5_
; %bb.0:
	s_load_dword s7, s[4:5], 0x1c
	s_load_dwordx4 s[0:3], s[4:5], 0x0
	v_mov_b32_e32 v3, 0
	s_waitcnt lgkmcnt(0)
	s_and_b32 s4, s7, 0xffff
	s_mul_i32 s6, s6, s4
	v_add_u32_e32 v2, s6, v0
	v_lshlrev_b64 v[4:5], 1, v[2:3]
	v_mov_b32_e32 v1, s1
	v_add_co_u32_e32 v4, vcc, s0, v4
	v_addc_co_u32_e32 v5, vcc, v1, v5, vcc
	global_load_ushort v1, v[4:5], off
	v_mbcnt_lo_u32_b32 v3, -1, 0
	v_bfrev_b32_e32 v4, 0.5
	v_mbcnt_hi_u32_b32 v3, -1, v3
	v_lshl_or_b32 v3, v3, 2, v4
	v_and_b32_e32 v0, 63, v0
	v_cmp_eq_u32_e32 vcc, 0, v0
	s_waitcnt vmcnt(0)
	v_and_b32_e32 v5, 0xffff, v1
	s_nop 1
	v_mov_b32_dpp v5, v5 quad_perm:[1,0,3,2] row_mask:0xf bank_mask:0xf
	v_add_f16_e32 v1, v1, v5
	s_nop 1
	v_mov_b32_dpp v5, v1 quad_perm:[2,3,0,1] row_mask:0xf bank_mask:0xf
	v_add_f16_e32 v1, v1, v5
	s_nop 1
	v_mov_b32_dpp v5, v1 row_ror:4 row_mask:0xf bank_mask:0xf
	v_add_f16_e32 v1, v1, v5
	s_nop 1
	v_mov_b32_dpp v5, v1 row_ror:8 row_mask:0xf bank_mask:0xf
	v_add_f16_e32 v1, v1, v5
	s_nop 1
	v_mov_b32_dpp v5, v1 row_bcast:15 row_mask:0xf bank_mask:0xf
	v_add_f16_e32 v1, v1, v5
	s_nop 1
	v_mov_b32_dpp v5, v1 row_bcast:31 row_mask:0xf bank_mask:0xf
	v_add_f16_e32 v1, v1, v5
	ds_bpermute_b32 v1, v3, v1
	s_and_saveexec_b64 s[0:1], vcc
	s_cbranch_execz .LBB31_2
; %bb.1:
	v_lshrrev_b32_e32 v0, 5, v2
	v_and_b32_e32 v0, 0x7fffffe, v0
	s_waitcnt lgkmcnt(0)
	global_store_short v0, v1, s[2:3]
.LBB31_2:
	s_endpgm
	.section	.rodata,"a",@progbits
	.p2align	6, 0x0
	.amdhsa_kernel _Z18warp_reduce_kernelI6__halfLj256ELj64EENSt9enable_ifIXsr10test_utilsE35device_test_enabled_for_warp_size_vIXT1_EEEvE4typeEPT_S5_
		.amdhsa_group_segment_fixed_size 0
		.amdhsa_private_segment_fixed_size 0
		.amdhsa_kernarg_size 272
		.amdhsa_user_sgpr_count 6
		.amdhsa_user_sgpr_private_segment_buffer 1
		.amdhsa_user_sgpr_dispatch_ptr 0
		.amdhsa_user_sgpr_queue_ptr 0
		.amdhsa_user_sgpr_kernarg_segment_ptr 1
		.amdhsa_user_sgpr_dispatch_id 0
		.amdhsa_user_sgpr_flat_scratch_init 0
		.amdhsa_user_sgpr_kernarg_preload_length 0
		.amdhsa_user_sgpr_kernarg_preload_offset 0
		.amdhsa_user_sgpr_private_segment_size 0
		.amdhsa_uses_dynamic_stack 0
		.amdhsa_system_sgpr_private_segment_wavefront_offset 0
		.amdhsa_system_sgpr_workgroup_id_x 1
		.amdhsa_system_sgpr_workgroup_id_y 0
		.amdhsa_system_sgpr_workgroup_id_z 0
		.amdhsa_system_sgpr_workgroup_info 0
		.amdhsa_system_vgpr_workitem_id 0
		.amdhsa_next_free_vgpr 6
		.amdhsa_next_free_sgpr 8
		.amdhsa_accum_offset 8
		.amdhsa_reserve_vcc 1
		.amdhsa_reserve_flat_scratch 0
		.amdhsa_float_round_mode_32 0
		.amdhsa_float_round_mode_16_64 0
		.amdhsa_float_denorm_mode_32 3
		.amdhsa_float_denorm_mode_16_64 3
		.amdhsa_dx10_clamp 1
		.amdhsa_ieee_mode 1
		.amdhsa_fp16_overflow 0
		.amdhsa_tg_split 0
		.amdhsa_exception_fp_ieee_invalid_op 0
		.amdhsa_exception_fp_denorm_src 0
		.amdhsa_exception_fp_ieee_div_zero 0
		.amdhsa_exception_fp_ieee_overflow 0
		.amdhsa_exception_fp_ieee_underflow 0
		.amdhsa_exception_fp_ieee_inexact 0
		.amdhsa_exception_int_div_zero 0
	.end_amdhsa_kernel
	.section	.text._Z18warp_reduce_kernelI6__halfLj256ELj64EENSt9enable_ifIXsr10test_utilsE35device_test_enabled_for_warp_size_vIXT1_EEEvE4typeEPT_S5_,"axG",@progbits,_Z18warp_reduce_kernelI6__halfLj256ELj64EENSt9enable_ifIXsr10test_utilsE35device_test_enabled_for_warp_size_vIXT1_EEEvE4typeEPT_S5_,comdat
.Lfunc_end31:
	.size	_Z18warp_reduce_kernelI6__halfLj256ELj64EENSt9enable_ifIXsr10test_utilsE35device_test_enabled_for_warp_size_vIXT1_EEEvE4typeEPT_S5_, .Lfunc_end31-_Z18warp_reduce_kernelI6__halfLj256ELj64EENSt9enable_ifIXsr10test_utilsE35device_test_enabled_for_warp_size_vIXT1_EEEvE4typeEPT_S5_
                                        ; -- End function
	.section	.AMDGPU.csdata,"",@progbits
; Kernel info:
; codeLenInByte = 256
; NumSgprs: 12
; NumVgprs: 6
; NumAgprs: 0
; TotalNumVgprs: 6
; ScratchSize: 0
; MemoryBound: 0
; FloatMode: 240
; IeeeMode: 1
; LDSByteSize: 0 bytes/workgroup (compile time only)
; SGPRBlocks: 1
; VGPRBlocks: 0
; NumSGPRsForWavesPerEU: 12
; NumVGPRsForWavesPerEU: 6
; AccumOffset: 8
; Occupancy: 8
; WaveLimiterHint : 0
; COMPUTE_PGM_RSRC2:SCRATCH_EN: 0
; COMPUTE_PGM_RSRC2:USER_SGPR: 6
; COMPUTE_PGM_RSRC2:TRAP_HANDLER: 0
; COMPUTE_PGM_RSRC2:TGID_X_EN: 1
; COMPUTE_PGM_RSRC2:TGID_Y_EN: 0
; COMPUTE_PGM_RSRC2:TGID_Z_EN: 0
; COMPUTE_PGM_RSRC2:TIDIG_COMP_CNT: 0
; COMPUTE_PGM_RSRC3_GFX90A:ACCUM_OFFSET: 1
; COMPUTE_PGM_RSRC3_GFX90A:TG_SPLIT: 0
	.section	.text._Z18warp_reduce_kernelI6__halfLj128ELj32EENSt9enable_ifIXsr10test_utilsE35device_test_enabled_for_warp_size_vIXT1_EEEvE4typeEPT_S5_,"axG",@progbits,_Z18warp_reduce_kernelI6__halfLj128ELj32EENSt9enable_ifIXsr10test_utilsE35device_test_enabled_for_warp_size_vIXT1_EEEvE4typeEPT_S5_,comdat
	.protected	_Z18warp_reduce_kernelI6__halfLj128ELj32EENSt9enable_ifIXsr10test_utilsE35device_test_enabled_for_warp_size_vIXT1_EEEvE4typeEPT_S5_ ; -- Begin function _Z18warp_reduce_kernelI6__halfLj128ELj32EENSt9enable_ifIXsr10test_utilsE35device_test_enabled_for_warp_size_vIXT1_EEEvE4typeEPT_S5_
	.globl	_Z18warp_reduce_kernelI6__halfLj128ELj32EENSt9enable_ifIXsr10test_utilsE35device_test_enabled_for_warp_size_vIXT1_EEEvE4typeEPT_S5_
	.p2align	8
	.type	_Z18warp_reduce_kernelI6__halfLj128ELj32EENSt9enable_ifIXsr10test_utilsE35device_test_enabled_for_warp_size_vIXT1_EEEvE4typeEPT_S5_,@function
_Z18warp_reduce_kernelI6__halfLj128ELj32EENSt9enable_ifIXsr10test_utilsE35device_test_enabled_for_warp_size_vIXT1_EEEvE4typeEPT_S5_: ; @_Z18warp_reduce_kernelI6__halfLj128ELj32EENSt9enable_ifIXsr10test_utilsE35device_test_enabled_for_warp_size_vIXT1_EEEvE4typeEPT_S5_
; %bb.0:
	s_load_dword s7, s[4:5], 0x1c
	s_load_dwordx4 s[0:3], s[4:5], 0x0
	v_mov_b32_e32 v3, 0
	s_waitcnt lgkmcnt(0)
	s_and_b32 s4, s7, 0xffff
	s_mul_i32 s6, s6, s4
	v_add_u32_e32 v2, s6, v0
	v_lshlrev_b64 v[4:5], 1, v[2:3]
	v_mov_b32_e32 v1, s1
	v_add_co_u32_e32 v4, vcc, s0, v4
	v_addc_co_u32_e32 v5, vcc, v1, v5, vcc
	global_load_ushort v1, v[4:5], off
	v_mbcnt_lo_u32_b32 v3, -1, 0
	v_mbcnt_hi_u32_b32 v3, -1, v3
	v_and_b32_e32 v4, 31, v3
	v_cmp_ne_u32_e32 vcc, 31, v4
	v_addc_co_u32_e32 v5, vcc, 0, v3, vcc
	v_lshlrev_b32_e32 v5, 2, v5
	v_cmp_gt_u32_e32 vcc, 30, v4
	v_and_b32_e32 v0, 31, v0
	s_waitcnt vmcnt(0)
	v_and_b32_e32 v6, 0xffff, v1
	ds_bpermute_b32 v5, v5, v6
	v_cndmask_b32_e64 v6, 0, 1, vcc
	v_lshlrev_b32_e32 v6, 1, v6
	v_add_lshl_u32 v6, v6, v3, 2
	v_cmp_gt_u32_e32 vcc, 28, v4
	s_waitcnt lgkmcnt(0)
	v_add_f16_e32 v1, v1, v5
	ds_bpermute_b32 v5, v6, v1
	v_cndmask_b32_e64 v6, 0, 1, vcc
	v_lshlrev_b32_e32 v6, 2, v6
	v_add_lshl_u32 v6, v6, v3, 2
	v_cmp_gt_u32_e32 vcc, 24, v4
	s_waitcnt lgkmcnt(0)
	v_add_f16_e32 v1, v1, v5
	ds_bpermute_b32 v5, v6, v1
	v_cndmask_b32_e64 v6, 0, 1, vcc
	v_lshlrev_b32_e32 v6, 3, v6
	v_add_lshl_u32 v6, v6, v3, 2
	v_cmp_gt_u32_e32 vcc, 16, v4
	s_waitcnt lgkmcnt(0)
	v_add_f16_e32 v1, v1, v5
	ds_bpermute_b32 v5, v6, v1
	v_cndmask_b32_e64 v4, 0, 1, vcc
	v_lshlrev_b32_e32 v4, 4, v4
	v_add_lshl_u32 v3, v4, v3, 2
	v_cmp_eq_u32_e32 vcc, 0, v0
	s_waitcnt lgkmcnt(0)
	v_add_f16_e32 v1, v1, v5
	ds_bpermute_b32 v3, v3, v1
	s_and_saveexec_b64 s[0:1], vcc
	s_cbranch_execz .LBB32_2
; %bb.1:
	v_lshrrev_b32_e32 v0, 4, v2
	v_and_b32_e32 v0, 0xffffffe, v0
	s_waitcnt lgkmcnt(0)
	v_add_f16_e32 v1, v1, v3
	global_store_short v0, v1, s[2:3]
.LBB32_2:
	s_endpgm
	.section	.rodata,"a",@progbits
	.p2align	6, 0x0
	.amdhsa_kernel _Z18warp_reduce_kernelI6__halfLj128ELj32EENSt9enable_ifIXsr10test_utilsE35device_test_enabled_for_warp_size_vIXT1_EEEvE4typeEPT_S5_
		.amdhsa_group_segment_fixed_size 0
		.amdhsa_private_segment_fixed_size 0
		.amdhsa_kernarg_size 272
		.amdhsa_user_sgpr_count 6
		.amdhsa_user_sgpr_private_segment_buffer 1
		.amdhsa_user_sgpr_dispatch_ptr 0
		.amdhsa_user_sgpr_queue_ptr 0
		.amdhsa_user_sgpr_kernarg_segment_ptr 1
		.amdhsa_user_sgpr_dispatch_id 0
		.amdhsa_user_sgpr_flat_scratch_init 0
		.amdhsa_user_sgpr_kernarg_preload_length 0
		.amdhsa_user_sgpr_kernarg_preload_offset 0
		.amdhsa_user_sgpr_private_segment_size 0
		.amdhsa_uses_dynamic_stack 0
		.amdhsa_system_sgpr_private_segment_wavefront_offset 0
		.amdhsa_system_sgpr_workgroup_id_x 1
		.amdhsa_system_sgpr_workgroup_id_y 0
		.amdhsa_system_sgpr_workgroup_id_z 0
		.amdhsa_system_sgpr_workgroup_info 0
		.amdhsa_system_vgpr_workitem_id 0
		.amdhsa_next_free_vgpr 7
		.amdhsa_next_free_sgpr 8
		.amdhsa_accum_offset 8
		.amdhsa_reserve_vcc 1
		.amdhsa_reserve_flat_scratch 0
		.amdhsa_float_round_mode_32 0
		.amdhsa_float_round_mode_16_64 0
		.amdhsa_float_denorm_mode_32 3
		.amdhsa_float_denorm_mode_16_64 3
		.amdhsa_dx10_clamp 1
		.amdhsa_ieee_mode 1
		.amdhsa_fp16_overflow 0
		.amdhsa_tg_split 0
		.amdhsa_exception_fp_ieee_invalid_op 0
		.amdhsa_exception_fp_denorm_src 0
		.amdhsa_exception_fp_ieee_div_zero 0
		.amdhsa_exception_fp_ieee_overflow 0
		.amdhsa_exception_fp_ieee_underflow 0
		.amdhsa_exception_fp_ieee_inexact 0
		.amdhsa_exception_int_div_zero 0
	.end_amdhsa_kernel
	.section	.text._Z18warp_reduce_kernelI6__halfLj128ELj32EENSt9enable_ifIXsr10test_utilsE35device_test_enabled_for_warp_size_vIXT1_EEEvE4typeEPT_S5_,"axG",@progbits,_Z18warp_reduce_kernelI6__halfLj128ELj32EENSt9enable_ifIXsr10test_utilsE35device_test_enabled_for_warp_size_vIXT1_EEEvE4typeEPT_S5_,comdat
.Lfunc_end32:
	.size	_Z18warp_reduce_kernelI6__halfLj128ELj32EENSt9enable_ifIXsr10test_utilsE35device_test_enabled_for_warp_size_vIXT1_EEEvE4typeEPT_S5_, .Lfunc_end32-_Z18warp_reduce_kernelI6__halfLj128ELj32EENSt9enable_ifIXsr10test_utilsE35device_test_enabled_for_warp_size_vIXT1_EEEvE4typeEPT_S5_
                                        ; -- End function
	.section	.AMDGPU.csdata,"",@progbits
; Kernel info:
; codeLenInByte = 328
; NumSgprs: 12
; NumVgprs: 7
; NumAgprs: 0
; TotalNumVgprs: 7
; ScratchSize: 0
; MemoryBound: 0
; FloatMode: 240
; IeeeMode: 1
; LDSByteSize: 0 bytes/workgroup (compile time only)
; SGPRBlocks: 1
; VGPRBlocks: 0
; NumSGPRsForWavesPerEU: 12
; NumVGPRsForWavesPerEU: 7
; AccumOffset: 8
; Occupancy: 8
; WaveLimiterHint : 0
; COMPUTE_PGM_RSRC2:SCRATCH_EN: 0
; COMPUTE_PGM_RSRC2:USER_SGPR: 6
; COMPUTE_PGM_RSRC2:TRAP_HANDLER: 0
; COMPUTE_PGM_RSRC2:TGID_X_EN: 1
; COMPUTE_PGM_RSRC2:TGID_Y_EN: 0
; COMPUTE_PGM_RSRC2:TGID_Z_EN: 0
; COMPUTE_PGM_RSRC2:TIDIG_COMP_CNT: 0
; COMPUTE_PGM_RSRC3_GFX90A:ACCUM_OFFSET: 1
; COMPUTE_PGM_RSRC3_GFX90A:TG_SPLIT: 0
	.section	.text._Z18warp_reduce_kernelI6__halfLj64ELj16EENSt9enable_ifIXsr10test_utilsE35device_test_enabled_for_warp_size_vIXT1_EEEvE4typeEPT_S5_,"axG",@progbits,_Z18warp_reduce_kernelI6__halfLj64ELj16EENSt9enable_ifIXsr10test_utilsE35device_test_enabled_for_warp_size_vIXT1_EEEvE4typeEPT_S5_,comdat
	.protected	_Z18warp_reduce_kernelI6__halfLj64ELj16EENSt9enable_ifIXsr10test_utilsE35device_test_enabled_for_warp_size_vIXT1_EEEvE4typeEPT_S5_ ; -- Begin function _Z18warp_reduce_kernelI6__halfLj64ELj16EENSt9enable_ifIXsr10test_utilsE35device_test_enabled_for_warp_size_vIXT1_EEEvE4typeEPT_S5_
	.globl	_Z18warp_reduce_kernelI6__halfLj64ELj16EENSt9enable_ifIXsr10test_utilsE35device_test_enabled_for_warp_size_vIXT1_EEEvE4typeEPT_S5_
	.p2align	8
	.type	_Z18warp_reduce_kernelI6__halfLj64ELj16EENSt9enable_ifIXsr10test_utilsE35device_test_enabled_for_warp_size_vIXT1_EEEvE4typeEPT_S5_,@function
_Z18warp_reduce_kernelI6__halfLj64ELj16EENSt9enable_ifIXsr10test_utilsE35device_test_enabled_for_warp_size_vIXT1_EEEvE4typeEPT_S5_: ; @_Z18warp_reduce_kernelI6__halfLj64ELj16EENSt9enable_ifIXsr10test_utilsE35device_test_enabled_for_warp_size_vIXT1_EEEvE4typeEPT_S5_
; %bb.0:
	s_load_dword s7, s[4:5], 0x1c
	s_load_dwordx4 s[0:3], s[4:5], 0x0
	v_mov_b32_e32 v3, 0
	s_waitcnt lgkmcnt(0)
	s_and_b32 s4, s7, 0xffff
	s_mul_i32 s6, s6, s4
	v_add_u32_e32 v2, s6, v0
	v_lshlrev_b64 v[4:5], 1, v[2:3]
	v_mov_b32_e32 v1, s1
	v_add_co_u32_e32 v4, vcc, s0, v4
	v_addc_co_u32_e32 v5, vcc, v1, v5, vcc
	global_load_ushort v1, v[4:5], off
	v_mbcnt_lo_u32_b32 v3, -1, 0
	v_mbcnt_hi_u32_b32 v3, -1, v3
	v_and_b32_e32 v4, 15, v3
	v_cmp_ne_u32_e32 vcc, 15, v4
	v_addc_co_u32_e32 v5, vcc, 0, v3, vcc
	v_lshlrev_b32_e32 v5, 2, v5
	v_cmp_gt_u32_e32 vcc, 14, v4
	v_and_b32_e32 v0, 15, v0
	s_waitcnt vmcnt(0)
	v_and_b32_e32 v6, 0xffff, v1
	ds_bpermute_b32 v5, v5, v6
	v_cndmask_b32_e64 v6, 0, 1, vcc
	v_lshlrev_b32_e32 v6, 1, v6
	v_add_lshl_u32 v6, v6, v3, 2
	v_cmp_gt_u32_e32 vcc, 12, v4
	s_waitcnt lgkmcnt(0)
	v_add_f16_e32 v1, v1, v5
	ds_bpermute_b32 v5, v6, v1
	v_cndmask_b32_e64 v6, 0, 1, vcc
	v_lshlrev_b32_e32 v6, 2, v6
	v_add_lshl_u32 v6, v6, v3, 2
	v_cmp_gt_u32_e32 vcc, 8, v4
	s_waitcnt lgkmcnt(0)
	v_add_f16_e32 v1, v1, v5
	ds_bpermute_b32 v5, v6, v1
	v_cndmask_b32_e64 v4, 0, 1, vcc
	v_lshlrev_b32_e32 v4, 3, v4
	v_add_lshl_u32 v3, v4, v3, 2
	v_cmp_eq_u32_e32 vcc, 0, v0
	s_waitcnt lgkmcnt(0)
	v_add_f16_e32 v1, v1, v5
	ds_bpermute_b32 v3, v3, v1
	s_and_saveexec_b64 s[0:1], vcc
	s_cbranch_execz .LBB33_2
; %bb.1:
	v_lshrrev_b32_e32 v0, 3, v2
	v_and_b32_e32 v0, 0x1ffffffe, v0
	s_waitcnt lgkmcnt(0)
	v_add_f16_e32 v1, v1, v3
	global_store_short v0, v1, s[2:3]
.LBB33_2:
	s_endpgm
	.section	.rodata,"a",@progbits
	.p2align	6, 0x0
	.amdhsa_kernel _Z18warp_reduce_kernelI6__halfLj64ELj16EENSt9enable_ifIXsr10test_utilsE35device_test_enabled_for_warp_size_vIXT1_EEEvE4typeEPT_S5_
		.amdhsa_group_segment_fixed_size 0
		.amdhsa_private_segment_fixed_size 0
		.amdhsa_kernarg_size 272
		.amdhsa_user_sgpr_count 6
		.amdhsa_user_sgpr_private_segment_buffer 1
		.amdhsa_user_sgpr_dispatch_ptr 0
		.amdhsa_user_sgpr_queue_ptr 0
		.amdhsa_user_sgpr_kernarg_segment_ptr 1
		.amdhsa_user_sgpr_dispatch_id 0
		.amdhsa_user_sgpr_flat_scratch_init 0
		.amdhsa_user_sgpr_kernarg_preload_length 0
		.amdhsa_user_sgpr_kernarg_preload_offset 0
		.amdhsa_user_sgpr_private_segment_size 0
		.amdhsa_uses_dynamic_stack 0
		.amdhsa_system_sgpr_private_segment_wavefront_offset 0
		.amdhsa_system_sgpr_workgroup_id_x 1
		.amdhsa_system_sgpr_workgroup_id_y 0
		.amdhsa_system_sgpr_workgroup_id_z 0
		.amdhsa_system_sgpr_workgroup_info 0
		.amdhsa_system_vgpr_workitem_id 0
		.amdhsa_next_free_vgpr 7
		.amdhsa_next_free_sgpr 8
		.amdhsa_accum_offset 8
		.amdhsa_reserve_vcc 1
		.amdhsa_reserve_flat_scratch 0
		.amdhsa_float_round_mode_32 0
		.amdhsa_float_round_mode_16_64 0
		.amdhsa_float_denorm_mode_32 3
		.amdhsa_float_denorm_mode_16_64 3
		.amdhsa_dx10_clamp 1
		.amdhsa_ieee_mode 1
		.amdhsa_fp16_overflow 0
		.amdhsa_tg_split 0
		.amdhsa_exception_fp_ieee_invalid_op 0
		.amdhsa_exception_fp_denorm_src 0
		.amdhsa_exception_fp_ieee_div_zero 0
		.amdhsa_exception_fp_ieee_overflow 0
		.amdhsa_exception_fp_ieee_underflow 0
		.amdhsa_exception_fp_ieee_inexact 0
		.amdhsa_exception_int_div_zero 0
	.end_amdhsa_kernel
	.section	.text._Z18warp_reduce_kernelI6__halfLj64ELj16EENSt9enable_ifIXsr10test_utilsE35device_test_enabled_for_warp_size_vIXT1_EEEvE4typeEPT_S5_,"axG",@progbits,_Z18warp_reduce_kernelI6__halfLj64ELj16EENSt9enable_ifIXsr10test_utilsE35device_test_enabled_for_warp_size_vIXT1_EEEvE4typeEPT_S5_,comdat
.Lfunc_end33:
	.size	_Z18warp_reduce_kernelI6__halfLj64ELj16EENSt9enable_ifIXsr10test_utilsE35device_test_enabled_for_warp_size_vIXT1_EEEvE4typeEPT_S5_, .Lfunc_end33-_Z18warp_reduce_kernelI6__halfLj64ELj16EENSt9enable_ifIXsr10test_utilsE35device_test_enabled_for_warp_size_vIXT1_EEEvE4typeEPT_S5_
                                        ; -- End function
	.section	.AMDGPU.csdata,"",@progbits
; Kernel info:
; codeLenInByte = 288
; NumSgprs: 12
; NumVgprs: 7
; NumAgprs: 0
; TotalNumVgprs: 7
; ScratchSize: 0
; MemoryBound: 0
; FloatMode: 240
; IeeeMode: 1
; LDSByteSize: 0 bytes/workgroup (compile time only)
; SGPRBlocks: 1
; VGPRBlocks: 0
; NumSGPRsForWavesPerEU: 12
; NumVGPRsForWavesPerEU: 7
; AccumOffset: 8
; Occupancy: 8
; WaveLimiterHint : 0
; COMPUTE_PGM_RSRC2:SCRATCH_EN: 0
; COMPUTE_PGM_RSRC2:USER_SGPR: 6
; COMPUTE_PGM_RSRC2:TRAP_HANDLER: 0
; COMPUTE_PGM_RSRC2:TGID_X_EN: 1
; COMPUTE_PGM_RSRC2:TGID_Y_EN: 0
; COMPUTE_PGM_RSRC2:TGID_Z_EN: 0
; COMPUTE_PGM_RSRC2:TIDIG_COMP_CNT: 0
; COMPUTE_PGM_RSRC3_GFX90A:ACCUM_OFFSET: 1
; COMPUTE_PGM_RSRC3_GFX90A:TG_SPLIT: 0
	.section	.text._Z18warp_reduce_kernelI6__halfLj32ELj8EENSt9enable_ifIXsr10test_utilsE35device_test_enabled_for_warp_size_vIXT1_EEEvE4typeEPT_S5_,"axG",@progbits,_Z18warp_reduce_kernelI6__halfLj32ELj8EENSt9enable_ifIXsr10test_utilsE35device_test_enabled_for_warp_size_vIXT1_EEEvE4typeEPT_S5_,comdat
	.protected	_Z18warp_reduce_kernelI6__halfLj32ELj8EENSt9enable_ifIXsr10test_utilsE35device_test_enabled_for_warp_size_vIXT1_EEEvE4typeEPT_S5_ ; -- Begin function _Z18warp_reduce_kernelI6__halfLj32ELj8EENSt9enable_ifIXsr10test_utilsE35device_test_enabled_for_warp_size_vIXT1_EEEvE4typeEPT_S5_
	.globl	_Z18warp_reduce_kernelI6__halfLj32ELj8EENSt9enable_ifIXsr10test_utilsE35device_test_enabled_for_warp_size_vIXT1_EEEvE4typeEPT_S5_
	.p2align	8
	.type	_Z18warp_reduce_kernelI6__halfLj32ELj8EENSt9enable_ifIXsr10test_utilsE35device_test_enabled_for_warp_size_vIXT1_EEEvE4typeEPT_S5_,@function
_Z18warp_reduce_kernelI6__halfLj32ELj8EENSt9enable_ifIXsr10test_utilsE35device_test_enabled_for_warp_size_vIXT1_EEEvE4typeEPT_S5_: ; @_Z18warp_reduce_kernelI6__halfLj32ELj8EENSt9enable_ifIXsr10test_utilsE35device_test_enabled_for_warp_size_vIXT1_EEEvE4typeEPT_S5_
; %bb.0:
	s_load_dword s7, s[4:5], 0x1c
	s_load_dwordx4 s[0:3], s[4:5], 0x0
	v_mov_b32_e32 v3, 0
	s_waitcnt lgkmcnt(0)
	s_and_b32 s4, s7, 0xffff
	s_mul_i32 s6, s6, s4
	v_add_u32_e32 v2, s6, v0
	v_lshlrev_b64 v[4:5], 1, v[2:3]
	v_mov_b32_e32 v1, s1
	v_add_co_u32_e32 v4, vcc, s0, v4
	v_addc_co_u32_e32 v5, vcc, v1, v5, vcc
	global_load_ushort v1, v[4:5], off
	v_mbcnt_lo_u32_b32 v3, -1, 0
	v_mbcnt_hi_u32_b32 v3, -1, v3
	v_and_b32_e32 v4, 7, v3
	v_cmp_ne_u32_e32 vcc, 7, v4
	v_addc_co_u32_e32 v5, vcc, 0, v3, vcc
	v_lshlrev_b32_e32 v5, 2, v5
	v_cmp_gt_u32_e32 vcc, 6, v4
	v_and_b32_e32 v0, 7, v0
	s_waitcnt vmcnt(0)
	v_and_b32_e32 v6, 0xffff, v1
	ds_bpermute_b32 v5, v5, v6
	v_cndmask_b32_e64 v6, 0, 1, vcc
	v_lshlrev_b32_e32 v6, 1, v6
	v_add_lshl_u32 v6, v6, v3, 2
	v_cmp_gt_u32_e32 vcc, 4, v4
	s_waitcnt lgkmcnt(0)
	v_add_f16_e32 v1, v1, v5
	ds_bpermute_b32 v5, v6, v1
	v_cndmask_b32_e64 v4, 0, 1, vcc
	v_lshlrev_b32_e32 v4, 2, v4
	v_add_lshl_u32 v3, v4, v3, 2
	v_cmp_eq_u32_e32 vcc, 0, v0
	s_waitcnt lgkmcnt(0)
	v_add_f16_e32 v1, v1, v5
	ds_bpermute_b32 v3, v3, v1
	s_and_saveexec_b64 s[0:1], vcc
	s_cbranch_execz .LBB34_2
; %bb.1:
	v_lshrrev_b32_e32 v0, 2, v2
	v_and_b32_e32 v0, 0x3ffffffe, v0
	s_waitcnt lgkmcnt(0)
	v_add_f16_e32 v1, v1, v3
	global_store_short v0, v1, s[2:3]
.LBB34_2:
	s_endpgm
	.section	.rodata,"a",@progbits
	.p2align	6, 0x0
	.amdhsa_kernel _Z18warp_reduce_kernelI6__halfLj32ELj8EENSt9enable_ifIXsr10test_utilsE35device_test_enabled_for_warp_size_vIXT1_EEEvE4typeEPT_S5_
		.amdhsa_group_segment_fixed_size 0
		.amdhsa_private_segment_fixed_size 0
		.amdhsa_kernarg_size 272
		.amdhsa_user_sgpr_count 6
		.amdhsa_user_sgpr_private_segment_buffer 1
		.amdhsa_user_sgpr_dispatch_ptr 0
		.amdhsa_user_sgpr_queue_ptr 0
		.amdhsa_user_sgpr_kernarg_segment_ptr 1
		.amdhsa_user_sgpr_dispatch_id 0
		.amdhsa_user_sgpr_flat_scratch_init 0
		.amdhsa_user_sgpr_kernarg_preload_length 0
		.amdhsa_user_sgpr_kernarg_preload_offset 0
		.amdhsa_user_sgpr_private_segment_size 0
		.amdhsa_uses_dynamic_stack 0
		.amdhsa_system_sgpr_private_segment_wavefront_offset 0
		.amdhsa_system_sgpr_workgroup_id_x 1
		.amdhsa_system_sgpr_workgroup_id_y 0
		.amdhsa_system_sgpr_workgroup_id_z 0
		.amdhsa_system_sgpr_workgroup_info 0
		.amdhsa_system_vgpr_workitem_id 0
		.amdhsa_next_free_vgpr 7
		.amdhsa_next_free_sgpr 8
		.amdhsa_accum_offset 8
		.amdhsa_reserve_vcc 1
		.amdhsa_reserve_flat_scratch 0
		.amdhsa_float_round_mode_32 0
		.amdhsa_float_round_mode_16_64 0
		.amdhsa_float_denorm_mode_32 3
		.amdhsa_float_denorm_mode_16_64 3
		.amdhsa_dx10_clamp 1
		.amdhsa_ieee_mode 1
		.amdhsa_fp16_overflow 0
		.amdhsa_tg_split 0
		.amdhsa_exception_fp_ieee_invalid_op 0
		.amdhsa_exception_fp_denorm_src 0
		.amdhsa_exception_fp_ieee_div_zero 0
		.amdhsa_exception_fp_ieee_overflow 0
		.amdhsa_exception_fp_ieee_underflow 0
		.amdhsa_exception_fp_ieee_inexact 0
		.amdhsa_exception_int_div_zero 0
	.end_amdhsa_kernel
	.section	.text._Z18warp_reduce_kernelI6__halfLj32ELj8EENSt9enable_ifIXsr10test_utilsE35device_test_enabled_for_warp_size_vIXT1_EEEvE4typeEPT_S5_,"axG",@progbits,_Z18warp_reduce_kernelI6__halfLj32ELj8EENSt9enable_ifIXsr10test_utilsE35device_test_enabled_for_warp_size_vIXT1_EEEvE4typeEPT_S5_,comdat
.Lfunc_end34:
	.size	_Z18warp_reduce_kernelI6__halfLj32ELj8EENSt9enable_ifIXsr10test_utilsE35device_test_enabled_for_warp_size_vIXT1_EEEvE4typeEPT_S5_, .Lfunc_end34-_Z18warp_reduce_kernelI6__halfLj32ELj8EENSt9enable_ifIXsr10test_utilsE35device_test_enabled_for_warp_size_vIXT1_EEEvE4typeEPT_S5_
                                        ; -- End function
	.section	.AMDGPU.csdata,"",@progbits
; Kernel info:
; codeLenInByte = 248
; NumSgprs: 12
; NumVgprs: 7
; NumAgprs: 0
; TotalNumVgprs: 7
; ScratchSize: 0
; MemoryBound: 0
; FloatMode: 240
; IeeeMode: 1
; LDSByteSize: 0 bytes/workgroup (compile time only)
; SGPRBlocks: 1
; VGPRBlocks: 0
; NumSGPRsForWavesPerEU: 12
; NumVGPRsForWavesPerEU: 7
; AccumOffset: 8
; Occupancy: 8
; WaveLimiterHint : 0
; COMPUTE_PGM_RSRC2:SCRATCH_EN: 0
; COMPUTE_PGM_RSRC2:USER_SGPR: 6
; COMPUTE_PGM_RSRC2:TRAP_HANDLER: 0
; COMPUTE_PGM_RSRC2:TGID_X_EN: 1
; COMPUTE_PGM_RSRC2:TGID_Y_EN: 0
; COMPUTE_PGM_RSRC2:TGID_Z_EN: 0
; COMPUTE_PGM_RSRC2:TIDIG_COMP_CNT: 0
; COMPUTE_PGM_RSRC3_GFX90A:ACCUM_OFFSET: 1
; COMPUTE_PGM_RSRC3_GFX90A:TG_SPLIT: 0
	.section	.text._Z18warp_reduce_kernelI6__halfLj64ELj8EENSt9enable_ifIXsr10test_utilsE35device_test_enabled_for_warp_size_vIXT1_EEEvE4typeEPT_S5_,"axG",@progbits,_Z18warp_reduce_kernelI6__halfLj64ELj8EENSt9enable_ifIXsr10test_utilsE35device_test_enabled_for_warp_size_vIXT1_EEEvE4typeEPT_S5_,comdat
	.protected	_Z18warp_reduce_kernelI6__halfLj64ELj8EENSt9enable_ifIXsr10test_utilsE35device_test_enabled_for_warp_size_vIXT1_EEEvE4typeEPT_S5_ ; -- Begin function _Z18warp_reduce_kernelI6__halfLj64ELj8EENSt9enable_ifIXsr10test_utilsE35device_test_enabled_for_warp_size_vIXT1_EEEvE4typeEPT_S5_
	.globl	_Z18warp_reduce_kernelI6__halfLj64ELj8EENSt9enable_ifIXsr10test_utilsE35device_test_enabled_for_warp_size_vIXT1_EEEvE4typeEPT_S5_
	.p2align	8
	.type	_Z18warp_reduce_kernelI6__halfLj64ELj8EENSt9enable_ifIXsr10test_utilsE35device_test_enabled_for_warp_size_vIXT1_EEEvE4typeEPT_S5_,@function
_Z18warp_reduce_kernelI6__halfLj64ELj8EENSt9enable_ifIXsr10test_utilsE35device_test_enabled_for_warp_size_vIXT1_EEEvE4typeEPT_S5_: ; @_Z18warp_reduce_kernelI6__halfLj64ELj8EENSt9enable_ifIXsr10test_utilsE35device_test_enabled_for_warp_size_vIXT1_EEEvE4typeEPT_S5_
; %bb.0:
	s_load_dword s7, s[4:5], 0x1c
	s_load_dwordx4 s[0:3], s[4:5], 0x0
	v_mov_b32_e32 v3, 0
	s_waitcnt lgkmcnt(0)
	s_and_b32 s4, s7, 0xffff
	s_mul_i32 s6, s6, s4
	v_add_u32_e32 v2, s6, v0
	v_lshlrev_b64 v[4:5], 1, v[2:3]
	v_mov_b32_e32 v1, s1
	v_add_co_u32_e32 v4, vcc, s0, v4
	v_addc_co_u32_e32 v5, vcc, v1, v5, vcc
	global_load_ushort v1, v[4:5], off
	v_mbcnt_lo_u32_b32 v3, -1, 0
	v_mbcnt_hi_u32_b32 v3, -1, v3
	v_and_b32_e32 v4, 7, v3
	v_cmp_ne_u32_e32 vcc, 7, v4
	v_addc_co_u32_e32 v5, vcc, 0, v3, vcc
	v_lshlrev_b32_e32 v5, 2, v5
	v_cmp_gt_u32_e32 vcc, 6, v4
	v_and_b32_e32 v0, 7, v0
	s_waitcnt vmcnt(0)
	v_and_b32_e32 v6, 0xffff, v1
	ds_bpermute_b32 v5, v5, v6
	v_cndmask_b32_e64 v6, 0, 1, vcc
	v_lshlrev_b32_e32 v6, 1, v6
	v_add_lshl_u32 v6, v6, v3, 2
	v_cmp_gt_u32_e32 vcc, 4, v4
	s_waitcnt lgkmcnt(0)
	v_add_f16_e32 v1, v1, v5
	ds_bpermute_b32 v5, v6, v1
	v_cndmask_b32_e64 v4, 0, 1, vcc
	v_lshlrev_b32_e32 v4, 2, v4
	v_add_lshl_u32 v3, v4, v3, 2
	v_cmp_eq_u32_e32 vcc, 0, v0
	s_waitcnt lgkmcnt(0)
	v_add_f16_e32 v1, v1, v5
	ds_bpermute_b32 v3, v3, v1
	s_and_saveexec_b64 s[0:1], vcc
	s_cbranch_execz .LBB35_2
; %bb.1:
	v_lshrrev_b32_e32 v0, 2, v2
	v_and_b32_e32 v0, 0x3ffffffe, v0
	s_waitcnt lgkmcnt(0)
	v_add_f16_e32 v1, v1, v3
	global_store_short v0, v1, s[2:3]
.LBB35_2:
	s_endpgm
	.section	.rodata,"a",@progbits
	.p2align	6, 0x0
	.amdhsa_kernel _Z18warp_reduce_kernelI6__halfLj64ELj8EENSt9enable_ifIXsr10test_utilsE35device_test_enabled_for_warp_size_vIXT1_EEEvE4typeEPT_S5_
		.amdhsa_group_segment_fixed_size 0
		.amdhsa_private_segment_fixed_size 0
		.amdhsa_kernarg_size 272
		.amdhsa_user_sgpr_count 6
		.amdhsa_user_sgpr_private_segment_buffer 1
		.amdhsa_user_sgpr_dispatch_ptr 0
		.amdhsa_user_sgpr_queue_ptr 0
		.amdhsa_user_sgpr_kernarg_segment_ptr 1
		.amdhsa_user_sgpr_dispatch_id 0
		.amdhsa_user_sgpr_flat_scratch_init 0
		.amdhsa_user_sgpr_kernarg_preload_length 0
		.amdhsa_user_sgpr_kernarg_preload_offset 0
		.amdhsa_user_sgpr_private_segment_size 0
		.amdhsa_uses_dynamic_stack 0
		.amdhsa_system_sgpr_private_segment_wavefront_offset 0
		.amdhsa_system_sgpr_workgroup_id_x 1
		.amdhsa_system_sgpr_workgroup_id_y 0
		.amdhsa_system_sgpr_workgroup_id_z 0
		.amdhsa_system_sgpr_workgroup_info 0
		.amdhsa_system_vgpr_workitem_id 0
		.amdhsa_next_free_vgpr 7
		.amdhsa_next_free_sgpr 8
		.amdhsa_accum_offset 8
		.amdhsa_reserve_vcc 1
		.amdhsa_reserve_flat_scratch 0
		.amdhsa_float_round_mode_32 0
		.amdhsa_float_round_mode_16_64 0
		.amdhsa_float_denorm_mode_32 3
		.amdhsa_float_denorm_mode_16_64 3
		.amdhsa_dx10_clamp 1
		.amdhsa_ieee_mode 1
		.amdhsa_fp16_overflow 0
		.amdhsa_tg_split 0
		.amdhsa_exception_fp_ieee_invalid_op 0
		.amdhsa_exception_fp_denorm_src 0
		.amdhsa_exception_fp_ieee_div_zero 0
		.amdhsa_exception_fp_ieee_overflow 0
		.amdhsa_exception_fp_ieee_underflow 0
		.amdhsa_exception_fp_ieee_inexact 0
		.amdhsa_exception_int_div_zero 0
	.end_amdhsa_kernel
	.section	.text._Z18warp_reduce_kernelI6__halfLj64ELj8EENSt9enable_ifIXsr10test_utilsE35device_test_enabled_for_warp_size_vIXT1_EEEvE4typeEPT_S5_,"axG",@progbits,_Z18warp_reduce_kernelI6__halfLj64ELj8EENSt9enable_ifIXsr10test_utilsE35device_test_enabled_for_warp_size_vIXT1_EEEvE4typeEPT_S5_,comdat
.Lfunc_end35:
	.size	_Z18warp_reduce_kernelI6__halfLj64ELj8EENSt9enable_ifIXsr10test_utilsE35device_test_enabled_for_warp_size_vIXT1_EEEvE4typeEPT_S5_, .Lfunc_end35-_Z18warp_reduce_kernelI6__halfLj64ELj8EENSt9enable_ifIXsr10test_utilsE35device_test_enabled_for_warp_size_vIXT1_EEEvE4typeEPT_S5_
                                        ; -- End function
	.section	.AMDGPU.csdata,"",@progbits
; Kernel info:
; codeLenInByte = 248
; NumSgprs: 12
; NumVgprs: 7
; NumAgprs: 0
; TotalNumVgprs: 7
; ScratchSize: 0
; MemoryBound: 0
; FloatMode: 240
; IeeeMode: 1
; LDSByteSize: 0 bytes/workgroup (compile time only)
; SGPRBlocks: 1
; VGPRBlocks: 0
; NumSGPRsForWavesPerEU: 12
; NumVGPRsForWavesPerEU: 7
; AccumOffset: 8
; Occupancy: 8
; WaveLimiterHint : 0
; COMPUTE_PGM_RSRC2:SCRATCH_EN: 0
; COMPUTE_PGM_RSRC2:USER_SGPR: 6
; COMPUTE_PGM_RSRC2:TRAP_HANDLER: 0
; COMPUTE_PGM_RSRC2:TGID_X_EN: 1
; COMPUTE_PGM_RSRC2:TGID_Y_EN: 0
; COMPUTE_PGM_RSRC2:TGID_Z_EN: 0
; COMPUTE_PGM_RSRC2:TIDIG_COMP_CNT: 0
; COMPUTE_PGM_RSRC3_GFX90A:ACCUM_OFFSET: 1
; COMPUTE_PGM_RSRC3_GFX90A:TG_SPLIT: 0
	.section	.text._Z18warp_reduce_kernelI6__halfLj32ELj4EENSt9enable_ifIXsr10test_utilsE35device_test_enabled_for_warp_size_vIXT1_EEEvE4typeEPT_S5_,"axG",@progbits,_Z18warp_reduce_kernelI6__halfLj32ELj4EENSt9enable_ifIXsr10test_utilsE35device_test_enabled_for_warp_size_vIXT1_EEEvE4typeEPT_S5_,comdat
	.protected	_Z18warp_reduce_kernelI6__halfLj32ELj4EENSt9enable_ifIXsr10test_utilsE35device_test_enabled_for_warp_size_vIXT1_EEEvE4typeEPT_S5_ ; -- Begin function _Z18warp_reduce_kernelI6__halfLj32ELj4EENSt9enable_ifIXsr10test_utilsE35device_test_enabled_for_warp_size_vIXT1_EEEvE4typeEPT_S5_
	.globl	_Z18warp_reduce_kernelI6__halfLj32ELj4EENSt9enable_ifIXsr10test_utilsE35device_test_enabled_for_warp_size_vIXT1_EEEvE4typeEPT_S5_
	.p2align	8
	.type	_Z18warp_reduce_kernelI6__halfLj32ELj4EENSt9enable_ifIXsr10test_utilsE35device_test_enabled_for_warp_size_vIXT1_EEEvE4typeEPT_S5_,@function
_Z18warp_reduce_kernelI6__halfLj32ELj4EENSt9enable_ifIXsr10test_utilsE35device_test_enabled_for_warp_size_vIXT1_EEEvE4typeEPT_S5_: ; @_Z18warp_reduce_kernelI6__halfLj32ELj4EENSt9enable_ifIXsr10test_utilsE35device_test_enabled_for_warp_size_vIXT1_EEEvE4typeEPT_S5_
; %bb.0:
	s_load_dword s7, s[4:5], 0x1c
	s_load_dwordx4 s[0:3], s[4:5], 0x0
	v_mov_b32_e32 v3, 0
	s_waitcnt lgkmcnt(0)
	s_and_b32 s4, s7, 0xffff
	s_mul_i32 s6, s6, s4
	v_add_u32_e32 v2, s6, v0
	v_lshlrev_b64 v[4:5], 1, v[2:3]
	v_mov_b32_e32 v1, s1
	v_add_co_u32_e32 v4, vcc, s0, v4
	v_addc_co_u32_e32 v5, vcc, v1, v5, vcc
	global_load_ushort v1, v[4:5], off
	v_mbcnt_lo_u32_b32 v3, -1, 0
	v_mbcnt_hi_u32_b32 v3, -1, v3
	v_and_b32_e32 v4, 3, v3
	v_cmp_ne_u32_e32 vcc, 3, v4
	v_addc_co_u32_e32 v5, vcc, 0, v3, vcc
	v_lshlrev_b32_e32 v5, 2, v5
	v_cmp_gt_u32_e32 vcc, 2, v4
	v_cndmask_b32_e64 v4, 0, 1, vcc
	v_lshlrev_b32_e32 v4, 1, v4
	v_add_lshl_u32 v3, v4, v3, 2
	v_and_b32_e32 v0, 3, v0
	v_cmp_eq_u32_e32 vcc, 0, v0
	s_waitcnt vmcnt(0)
	v_and_b32_e32 v6, 0xffff, v1
	ds_bpermute_b32 v5, v5, v6
	s_waitcnt lgkmcnt(0)
	v_add_f16_e32 v1, v1, v5
	ds_bpermute_b32 v3, v3, v1
	s_and_saveexec_b64 s[0:1], vcc
	s_cbranch_execz .LBB36_2
; %bb.1:
	v_lshrrev_b32_e32 v0, 1, v2
	v_and_b32_e32 v0, 0x7ffffffe, v0
	s_waitcnt lgkmcnt(0)
	v_add_f16_e32 v1, v1, v3
	global_store_short v0, v1, s[2:3]
.LBB36_2:
	s_endpgm
	.section	.rodata,"a",@progbits
	.p2align	6, 0x0
	.amdhsa_kernel _Z18warp_reduce_kernelI6__halfLj32ELj4EENSt9enable_ifIXsr10test_utilsE35device_test_enabled_for_warp_size_vIXT1_EEEvE4typeEPT_S5_
		.amdhsa_group_segment_fixed_size 0
		.amdhsa_private_segment_fixed_size 0
		.amdhsa_kernarg_size 272
		.amdhsa_user_sgpr_count 6
		.amdhsa_user_sgpr_private_segment_buffer 1
		.amdhsa_user_sgpr_dispatch_ptr 0
		.amdhsa_user_sgpr_queue_ptr 0
		.amdhsa_user_sgpr_kernarg_segment_ptr 1
		.amdhsa_user_sgpr_dispatch_id 0
		.amdhsa_user_sgpr_flat_scratch_init 0
		.amdhsa_user_sgpr_kernarg_preload_length 0
		.amdhsa_user_sgpr_kernarg_preload_offset 0
		.amdhsa_user_sgpr_private_segment_size 0
		.amdhsa_uses_dynamic_stack 0
		.amdhsa_system_sgpr_private_segment_wavefront_offset 0
		.amdhsa_system_sgpr_workgroup_id_x 1
		.amdhsa_system_sgpr_workgroup_id_y 0
		.amdhsa_system_sgpr_workgroup_id_z 0
		.amdhsa_system_sgpr_workgroup_info 0
		.amdhsa_system_vgpr_workitem_id 0
		.amdhsa_next_free_vgpr 7
		.amdhsa_next_free_sgpr 8
		.amdhsa_accum_offset 8
		.amdhsa_reserve_vcc 1
		.amdhsa_reserve_flat_scratch 0
		.amdhsa_float_round_mode_32 0
		.amdhsa_float_round_mode_16_64 0
		.amdhsa_float_denorm_mode_32 3
		.amdhsa_float_denorm_mode_16_64 3
		.amdhsa_dx10_clamp 1
		.amdhsa_ieee_mode 1
		.amdhsa_fp16_overflow 0
		.amdhsa_tg_split 0
		.amdhsa_exception_fp_ieee_invalid_op 0
		.amdhsa_exception_fp_denorm_src 0
		.amdhsa_exception_fp_ieee_div_zero 0
		.amdhsa_exception_fp_ieee_overflow 0
		.amdhsa_exception_fp_ieee_underflow 0
		.amdhsa_exception_fp_ieee_inexact 0
		.amdhsa_exception_int_div_zero 0
	.end_amdhsa_kernel
	.section	.text._Z18warp_reduce_kernelI6__halfLj32ELj4EENSt9enable_ifIXsr10test_utilsE35device_test_enabled_for_warp_size_vIXT1_EEEvE4typeEPT_S5_,"axG",@progbits,_Z18warp_reduce_kernelI6__halfLj32ELj4EENSt9enable_ifIXsr10test_utilsE35device_test_enabled_for_warp_size_vIXT1_EEEvE4typeEPT_S5_,comdat
.Lfunc_end36:
	.size	_Z18warp_reduce_kernelI6__halfLj32ELj4EENSt9enable_ifIXsr10test_utilsE35device_test_enabled_for_warp_size_vIXT1_EEEvE4typeEPT_S5_, .Lfunc_end36-_Z18warp_reduce_kernelI6__halfLj32ELj4EENSt9enable_ifIXsr10test_utilsE35device_test_enabled_for_warp_size_vIXT1_EEEvE4typeEPT_S5_
                                        ; -- End function
	.section	.AMDGPU.csdata,"",@progbits
; Kernel info:
; codeLenInByte = 208
; NumSgprs: 12
; NumVgprs: 7
; NumAgprs: 0
; TotalNumVgprs: 7
; ScratchSize: 0
; MemoryBound: 0
; FloatMode: 240
; IeeeMode: 1
; LDSByteSize: 0 bytes/workgroup (compile time only)
; SGPRBlocks: 1
; VGPRBlocks: 0
; NumSGPRsForWavesPerEU: 12
; NumVGPRsForWavesPerEU: 7
; AccumOffset: 8
; Occupancy: 8
; WaveLimiterHint : 0
; COMPUTE_PGM_RSRC2:SCRATCH_EN: 0
; COMPUTE_PGM_RSRC2:USER_SGPR: 6
; COMPUTE_PGM_RSRC2:TRAP_HANDLER: 0
; COMPUTE_PGM_RSRC2:TGID_X_EN: 1
; COMPUTE_PGM_RSRC2:TGID_Y_EN: 0
; COMPUTE_PGM_RSRC2:TGID_Z_EN: 0
; COMPUTE_PGM_RSRC2:TIDIG_COMP_CNT: 0
; COMPUTE_PGM_RSRC3_GFX90A:ACCUM_OFFSET: 1
; COMPUTE_PGM_RSRC3_GFX90A:TG_SPLIT: 0
	.section	.text._Z18warp_reduce_kernelI6__halfLj64ELj4EENSt9enable_ifIXsr10test_utilsE35device_test_enabled_for_warp_size_vIXT1_EEEvE4typeEPT_S5_,"axG",@progbits,_Z18warp_reduce_kernelI6__halfLj64ELj4EENSt9enable_ifIXsr10test_utilsE35device_test_enabled_for_warp_size_vIXT1_EEEvE4typeEPT_S5_,comdat
	.protected	_Z18warp_reduce_kernelI6__halfLj64ELj4EENSt9enable_ifIXsr10test_utilsE35device_test_enabled_for_warp_size_vIXT1_EEEvE4typeEPT_S5_ ; -- Begin function _Z18warp_reduce_kernelI6__halfLj64ELj4EENSt9enable_ifIXsr10test_utilsE35device_test_enabled_for_warp_size_vIXT1_EEEvE4typeEPT_S5_
	.globl	_Z18warp_reduce_kernelI6__halfLj64ELj4EENSt9enable_ifIXsr10test_utilsE35device_test_enabled_for_warp_size_vIXT1_EEEvE4typeEPT_S5_
	.p2align	8
	.type	_Z18warp_reduce_kernelI6__halfLj64ELj4EENSt9enable_ifIXsr10test_utilsE35device_test_enabled_for_warp_size_vIXT1_EEEvE4typeEPT_S5_,@function
_Z18warp_reduce_kernelI6__halfLj64ELj4EENSt9enable_ifIXsr10test_utilsE35device_test_enabled_for_warp_size_vIXT1_EEEvE4typeEPT_S5_: ; @_Z18warp_reduce_kernelI6__halfLj64ELj4EENSt9enable_ifIXsr10test_utilsE35device_test_enabled_for_warp_size_vIXT1_EEEvE4typeEPT_S5_
; %bb.0:
	s_load_dword s7, s[4:5], 0x1c
	s_load_dwordx4 s[0:3], s[4:5], 0x0
	v_mov_b32_e32 v3, 0
	s_waitcnt lgkmcnt(0)
	s_and_b32 s4, s7, 0xffff
	s_mul_i32 s6, s6, s4
	v_add_u32_e32 v2, s6, v0
	v_lshlrev_b64 v[4:5], 1, v[2:3]
	v_mov_b32_e32 v1, s1
	v_add_co_u32_e32 v4, vcc, s0, v4
	v_addc_co_u32_e32 v5, vcc, v1, v5, vcc
	global_load_ushort v1, v[4:5], off
	v_mbcnt_lo_u32_b32 v3, -1, 0
	v_mbcnt_hi_u32_b32 v3, -1, v3
	v_and_b32_e32 v4, 3, v3
	v_cmp_ne_u32_e32 vcc, 3, v4
	v_addc_co_u32_e32 v5, vcc, 0, v3, vcc
	v_lshlrev_b32_e32 v5, 2, v5
	v_cmp_gt_u32_e32 vcc, 2, v4
	v_cndmask_b32_e64 v4, 0, 1, vcc
	v_lshlrev_b32_e32 v4, 1, v4
	v_add_lshl_u32 v3, v4, v3, 2
	v_and_b32_e32 v0, 3, v0
	v_cmp_eq_u32_e32 vcc, 0, v0
	s_waitcnt vmcnt(0)
	v_and_b32_e32 v6, 0xffff, v1
	ds_bpermute_b32 v5, v5, v6
	s_waitcnt lgkmcnt(0)
	v_add_f16_e32 v1, v1, v5
	ds_bpermute_b32 v3, v3, v1
	s_and_saveexec_b64 s[0:1], vcc
	s_cbranch_execz .LBB37_2
; %bb.1:
	v_lshrrev_b32_e32 v0, 1, v2
	v_and_b32_e32 v0, 0x7ffffffe, v0
	s_waitcnt lgkmcnt(0)
	v_add_f16_e32 v1, v1, v3
	global_store_short v0, v1, s[2:3]
.LBB37_2:
	s_endpgm
	.section	.rodata,"a",@progbits
	.p2align	6, 0x0
	.amdhsa_kernel _Z18warp_reduce_kernelI6__halfLj64ELj4EENSt9enable_ifIXsr10test_utilsE35device_test_enabled_for_warp_size_vIXT1_EEEvE4typeEPT_S5_
		.amdhsa_group_segment_fixed_size 0
		.amdhsa_private_segment_fixed_size 0
		.amdhsa_kernarg_size 272
		.amdhsa_user_sgpr_count 6
		.amdhsa_user_sgpr_private_segment_buffer 1
		.amdhsa_user_sgpr_dispatch_ptr 0
		.amdhsa_user_sgpr_queue_ptr 0
		.amdhsa_user_sgpr_kernarg_segment_ptr 1
		.amdhsa_user_sgpr_dispatch_id 0
		.amdhsa_user_sgpr_flat_scratch_init 0
		.amdhsa_user_sgpr_kernarg_preload_length 0
		.amdhsa_user_sgpr_kernarg_preload_offset 0
		.amdhsa_user_sgpr_private_segment_size 0
		.amdhsa_uses_dynamic_stack 0
		.amdhsa_system_sgpr_private_segment_wavefront_offset 0
		.amdhsa_system_sgpr_workgroup_id_x 1
		.amdhsa_system_sgpr_workgroup_id_y 0
		.amdhsa_system_sgpr_workgroup_id_z 0
		.amdhsa_system_sgpr_workgroup_info 0
		.amdhsa_system_vgpr_workitem_id 0
		.amdhsa_next_free_vgpr 7
		.amdhsa_next_free_sgpr 8
		.amdhsa_accum_offset 8
		.amdhsa_reserve_vcc 1
		.amdhsa_reserve_flat_scratch 0
		.amdhsa_float_round_mode_32 0
		.amdhsa_float_round_mode_16_64 0
		.amdhsa_float_denorm_mode_32 3
		.amdhsa_float_denorm_mode_16_64 3
		.amdhsa_dx10_clamp 1
		.amdhsa_ieee_mode 1
		.amdhsa_fp16_overflow 0
		.amdhsa_tg_split 0
		.amdhsa_exception_fp_ieee_invalid_op 0
		.amdhsa_exception_fp_denorm_src 0
		.amdhsa_exception_fp_ieee_div_zero 0
		.amdhsa_exception_fp_ieee_overflow 0
		.amdhsa_exception_fp_ieee_underflow 0
		.amdhsa_exception_fp_ieee_inexact 0
		.amdhsa_exception_int_div_zero 0
	.end_amdhsa_kernel
	.section	.text._Z18warp_reduce_kernelI6__halfLj64ELj4EENSt9enable_ifIXsr10test_utilsE35device_test_enabled_for_warp_size_vIXT1_EEEvE4typeEPT_S5_,"axG",@progbits,_Z18warp_reduce_kernelI6__halfLj64ELj4EENSt9enable_ifIXsr10test_utilsE35device_test_enabled_for_warp_size_vIXT1_EEEvE4typeEPT_S5_,comdat
.Lfunc_end37:
	.size	_Z18warp_reduce_kernelI6__halfLj64ELj4EENSt9enable_ifIXsr10test_utilsE35device_test_enabled_for_warp_size_vIXT1_EEEvE4typeEPT_S5_, .Lfunc_end37-_Z18warp_reduce_kernelI6__halfLj64ELj4EENSt9enable_ifIXsr10test_utilsE35device_test_enabled_for_warp_size_vIXT1_EEEvE4typeEPT_S5_
                                        ; -- End function
	.section	.AMDGPU.csdata,"",@progbits
; Kernel info:
; codeLenInByte = 208
; NumSgprs: 12
; NumVgprs: 7
; NumAgprs: 0
; TotalNumVgprs: 7
; ScratchSize: 0
; MemoryBound: 0
; FloatMode: 240
; IeeeMode: 1
; LDSByteSize: 0 bytes/workgroup (compile time only)
; SGPRBlocks: 1
; VGPRBlocks: 0
; NumSGPRsForWavesPerEU: 12
; NumVGPRsForWavesPerEU: 7
; AccumOffset: 8
; Occupancy: 8
; WaveLimiterHint : 0
; COMPUTE_PGM_RSRC2:SCRATCH_EN: 0
; COMPUTE_PGM_RSRC2:USER_SGPR: 6
; COMPUTE_PGM_RSRC2:TRAP_HANDLER: 0
; COMPUTE_PGM_RSRC2:TGID_X_EN: 1
; COMPUTE_PGM_RSRC2:TGID_Y_EN: 0
; COMPUTE_PGM_RSRC2:TGID_Z_EN: 0
; COMPUTE_PGM_RSRC2:TIDIG_COMP_CNT: 0
; COMPUTE_PGM_RSRC3_GFX90A:ACCUM_OFFSET: 1
; COMPUTE_PGM_RSRC3_GFX90A:TG_SPLIT: 0
	.section	.text._Z18warp_reduce_kernelI6__halfLj32ELj2EENSt9enable_ifIXsr10test_utilsE35device_test_enabled_for_warp_size_vIXT1_EEEvE4typeEPT_S5_,"axG",@progbits,_Z18warp_reduce_kernelI6__halfLj32ELj2EENSt9enable_ifIXsr10test_utilsE35device_test_enabled_for_warp_size_vIXT1_EEEvE4typeEPT_S5_,comdat
	.protected	_Z18warp_reduce_kernelI6__halfLj32ELj2EENSt9enable_ifIXsr10test_utilsE35device_test_enabled_for_warp_size_vIXT1_EEEvE4typeEPT_S5_ ; -- Begin function _Z18warp_reduce_kernelI6__halfLj32ELj2EENSt9enable_ifIXsr10test_utilsE35device_test_enabled_for_warp_size_vIXT1_EEEvE4typeEPT_S5_
	.globl	_Z18warp_reduce_kernelI6__halfLj32ELj2EENSt9enable_ifIXsr10test_utilsE35device_test_enabled_for_warp_size_vIXT1_EEEvE4typeEPT_S5_
	.p2align	8
	.type	_Z18warp_reduce_kernelI6__halfLj32ELj2EENSt9enable_ifIXsr10test_utilsE35device_test_enabled_for_warp_size_vIXT1_EEEvE4typeEPT_S5_,@function
_Z18warp_reduce_kernelI6__halfLj32ELj2EENSt9enable_ifIXsr10test_utilsE35device_test_enabled_for_warp_size_vIXT1_EEEvE4typeEPT_S5_: ; @_Z18warp_reduce_kernelI6__halfLj32ELj2EENSt9enable_ifIXsr10test_utilsE35device_test_enabled_for_warp_size_vIXT1_EEEvE4typeEPT_S5_
; %bb.0:
	s_load_dword s7, s[4:5], 0x1c
	s_load_dwordx4 s[0:3], s[4:5], 0x0
	v_mov_b32_e32 v3, 0
	s_waitcnt lgkmcnt(0)
	s_and_b32 s4, s7, 0xffff
	s_mul_i32 s6, s6, s4
	v_add_u32_e32 v2, s6, v0
	v_lshlrev_b64 v[4:5], 1, v[2:3]
	v_mov_b32_e32 v1, s1
	v_add_co_u32_e32 v4, vcc, s0, v4
	v_addc_co_u32_e32 v5, vcc, v1, v5, vcc
	global_load_ushort v1, v[4:5], off
	v_mbcnt_lo_u32_b32 v3, -1, 0
	v_mbcnt_hi_u32_b32 v3, -1, v3
	v_lshl_or_b32 v3, v3, 2, 4
	v_and_b32_e32 v0, 1, v0
	v_cmp_eq_u32_e32 vcc, 0, v0
	s_waitcnt vmcnt(0)
	v_and_b32_e32 v4, 0xffff, v1
	ds_bpermute_b32 v3, v3, v4
	s_and_saveexec_b64 s[0:1], vcc
	s_cbranch_execz .LBB38_2
; %bb.1:
	v_and_b32_e32 v0, -2, v2
	s_waitcnt lgkmcnt(0)
	v_add_f16_e32 v1, v1, v3
	global_store_short v0, v1, s[2:3]
.LBB38_2:
	s_endpgm
	.section	.rodata,"a",@progbits
	.p2align	6, 0x0
	.amdhsa_kernel _Z18warp_reduce_kernelI6__halfLj32ELj2EENSt9enable_ifIXsr10test_utilsE35device_test_enabled_for_warp_size_vIXT1_EEEvE4typeEPT_S5_
		.amdhsa_group_segment_fixed_size 0
		.amdhsa_private_segment_fixed_size 0
		.amdhsa_kernarg_size 272
		.amdhsa_user_sgpr_count 6
		.amdhsa_user_sgpr_private_segment_buffer 1
		.amdhsa_user_sgpr_dispatch_ptr 0
		.amdhsa_user_sgpr_queue_ptr 0
		.amdhsa_user_sgpr_kernarg_segment_ptr 1
		.amdhsa_user_sgpr_dispatch_id 0
		.amdhsa_user_sgpr_flat_scratch_init 0
		.amdhsa_user_sgpr_kernarg_preload_length 0
		.amdhsa_user_sgpr_kernarg_preload_offset 0
		.amdhsa_user_sgpr_private_segment_size 0
		.amdhsa_uses_dynamic_stack 0
		.amdhsa_system_sgpr_private_segment_wavefront_offset 0
		.amdhsa_system_sgpr_workgroup_id_x 1
		.amdhsa_system_sgpr_workgroup_id_y 0
		.amdhsa_system_sgpr_workgroup_id_z 0
		.amdhsa_system_sgpr_workgroup_info 0
		.amdhsa_system_vgpr_workitem_id 0
		.amdhsa_next_free_vgpr 6
		.amdhsa_next_free_sgpr 8
		.amdhsa_accum_offset 8
		.amdhsa_reserve_vcc 1
		.amdhsa_reserve_flat_scratch 0
		.amdhsa_float_round_mode_32 0
		.amdhsa_float_round_mode_16_64 0
		.amdhsa_float_denorm_mode_32 3
		.amdhsa_float_denorm_mode_16_64 3
		.amdhsa_dx10_clamp 1
		.amdhsa_ieee_mode 1
		.amdhsa_fp16_overflow 0
		.amdhsa_tg_split 0
		.amdhsa_exception_fp_ieee_invalid_op 0
		.amdhsa_exception_fp_denorm_src 0
		.amdhsa_exception_fp_ieee_div_zero 0
		.amdhsa_exception_fp_ieee_overflow 0
		.amdhsa_exception_fp_ieee_underflow 0
		.amdhsa_exception_fp_ieee_inexact 0
		.amdhsa_exception_int_div_zero 0
	.end_amdhsa_kernel
	.section	.text._Z18warp_reduce_kernelI6__halfLj32ELj2EENSt9enable_ifIXsr10test_utilsE35device_test_enabled_for_warp_size_vIXT1_EEEvE4typeEPT_S5_,"axG",@progbits,_Z18warp_reduce_kernelI6__halfLj32ELj2EENSt9enable_ifIXsr10test_utilsE35device_test_enabled_for_warp_size_vIXT1_EEEvE4typeEPT_S5_,comdat
.Lfunc_end38:
	.size	_Z18warp_reduce_kernelI6__halfLj32ELj2EENSt9enable_ifIXsr10test_utilsE35device_test_enabled_for_warp_size_vIXT1_EEEvE4typeEPT_S5_, .Lfunc_end38-_Z18warp_reduce_kernelI6__halfLj32ELj2EENSt9enable_ifIXsr10test_utilsE35device_test_enabled_for_warp_size_vIXT1_EEEvE4typeEPT_S5_
                                        ; -- End function
	.section	.AMDGPU.csdata,"",@progbits
; Kernel info:
; codeLenInByte = 152
; NumSgprs: 12
; NumVgprs: 6
; NumAgprs: 0
; TotalNumVgprs: 6
; ScratchSize: 0
; MemoryBound: 0
; FloatMode: 240
; IeeeMode: 1
; LDSByteSize: 0 bytes/workgroup (compile time only)
; SGPRBlocks: 1
; VGPRBlocks: 0
; NumSGPRsForWavesPerEU: 12
; NumVGPRsForWavesPerEU: 6
; AccumOffset: 8
; Occupancy: 8
; WaveLimiterHint : 0
; COMPUTE_PGM_RSRC2:SCRATCH_EN: 0
; COMPUTE_PGM_RSRC2:USER_SGPR: 6
; COMPUTE_PGM_RSRC2:TRAP_HANDLER: 0
; COMPUTE_PGM_RSRC2:TGID_X_EN: 1
; COMPUTE_PGM_RSRC2:TGID_Y_EN: 0
; COMPUTE_PGM_RSRC2:TGID_Z_EN: 0
; COMPUTE_PGM_RSRC2:TIDIG_COMP_CNT: 0
; COMPUTE_PGM_RSRC3_GFX90A:ACCUM_OFFSET: 1
; COMPUTE_PGM_RSRC3_GFX90A:TG_SPLIT: 0
	.section	.text._Z18warp_reduce_kernelI6__halfLj64ELj2EENSt9enable_ifIXsr10test_utilsE35device_test_enabled_for_warp_size_vIXT1_EEEvE4typeEPT_S5_,"axG",@progbits,_Z18warp_reduce_kernelI6__halfLj64ELj2EENSt9enable_ifIXsr10test_utilsE35device_test_enabled_for_warp_size_vIXT1_EEEvE4typeEPT_S5_,comdat
	.protected	_Z18warp_reduce_kernelI6__halfLj64ELj2EENSt9enable_ifIXsr10test_utilsE35device_test_enabled_for_warp_size_vIXT1_EEEvE4typeEPT_S5_ ; -- Begin function _Z18warp_reduce_kernelI6__halfLj64ELj2EENSt9enable_ifIXsr10test_utilsE35device_test_enabled_for_warp_size_vIXT1_EEEvE4typeEPT_S5_
	.globl	_Z18warp_reduce_kernelI6__halfLj64ELj2EENSt9enable_ifIXsr10test_utilsE35device_test_enabled_for_warp_size_vIXT1_EEEvE4typeEPT_S5_
	.p2align	8
	.type	_Z18warp_reduce_kernelI6__halfLj64ELj2EENSt9enable_ifIXsr10test_utilsE35device_test_enabled_for_warp_size_vIXT1_EEEvE4typeEPT_S5_,@function
_Z18warp_reduce_kernelI6__halfLj64ELj2EENSt9enable_ifIXsr10test_utilsE35device_test_enabled_for_warp_size_vIXT1_EEEvE4typeEPT_S5_: ; @_Z18warp_reduce_kernelI6__halfLj64ELj2EENSt9enable_ifIXsr10test_utilsE35device_test_enabled_for_warp_size_vIXT1_EEEvE4typeEPT_S5_
; %bb.0:
	s_load_dword s7, s[4:5], 0x1c
	s_load_dwordx4 s[0:3], s[4:5], 0x0
	v_mov_b32_e32 v3, 0
	s_waitcnt lgkmcnt(0)
	s_and_b32 s4, s7, 0xffff
	s_mul_i32 s6, s6, s4
	v_add_u32_e32 v2, s6, v0
	v_lshlrev_b64 v[4:5], 1, v[2:3]
	v_mov_b32_e32 v1, s1
	v_add_co_u32_e32 v4, vcc, s0, v4
	v_addc_co_u32_e32 v5, vcc, v1, v5, vcc
	global_load_ushort v1, v[4:5], off
	v_mbcnt_lo_u32_b32 v3, -1, 0
	v_mbcnt_hi_u32_b32 v3, -1, v3
	v_lshl_or_b32 v3, v3, 2, 4
	v_and_b32_e32 v0, 1, v0
	v_cmp_eq_u32_e32 vcc, 0, v0
	s_waitcnt vmcnt(0)
	v_and_b32_e32 v4, 0xffff, v1
	ds_bpermute_b32 v3, v3, v4
	s_and_saveexec_b64 s[0:1], vcc
	s_cbranch_execz .LBB39_2
; %bb.1:
	v_and_b32_e32 v0, -2, v2
	s_waitcnt lgkmcnt(0)
	v_add_f16_e32 v1, v1, v3
	global_store_short v0, v1, s[2:3]
.LBB39_2:
	s_endpgm
	.section	.rodata,"a",@progbits
	.p2align	6, 0x0
	.amdhsa_kernel _Z18warp_reduce_kernelI6__halfLj64ELj2EENSt9enable_ifIXsr10test_utilsE35device_test_enabled_for_warp_size_vIXT1_EEEvE4typeEPT_S5_
		.amdhsa_group_segment_fixed_size 0
		.amdhsa_private_segment_fixed_size 0
		.amdhsa_kernarg_size 272
		.amdhsa_user_sgpr_count 6
		.amdhsa_user_sgpr_private_segment_buffer 1
		.amdhsa_user_sgpr_dispatch_ptr 0
		.amdhsa_user_sgpr_queue_ptr 0
		.amdhsa_user_sgpr_kernarg_segment_ptr 1
		.amdhsa_user_sgpr_dispatch_id 0
		.amdhsa_user_sgpr_flat_scratch_init 0
		.amdhsa_user_sgpr_kernarg_preload_length 0
		.amdhsa_user_sgpr_kernarg_preload_offset 0
		.amdhsa_user_sgpr_private_segment_size 0
		.amdhsa_uses_dynamic_stack 0
		.amdhsa_system_sgpr_private_segment_wavefront_offset 0
		.amdhsa_system_sgpr_workgroup_id_x 1
		.amdhsa_system_sgpr_workgroup_id_y 0
		.amdhsa_system_sgpr_workgroup_id_z 0
		.amdhsa_system_sgpr_workgroup_info 0
		.amdhsa_system_vgpr_workitem_id 0
		.amdhsa_next_free_vgpr 6
		.amdhsa_next_free_sgpr 8
		.amdhsa_accum_offset 8
		.amdhsa_reserve_vcc 1
		.amdhsa_reserve_flat_scratch 0
		.amdhsa_float_round_mode_32 0
		.amdhsa_float_round_mode_16_64 0
		.amdhsa_float_denorm_mode_32 3
		.amdhsa_float_denorm_mode_16_64 3
		.amdhsa_dx10_clamp 1
		.amdhsa_ieee_mode 1
		.amdhsa_fp16_overflow 0
		.amdhsa_tg_split 0
		.amdhsa_exception_fp_ieee_invalid_op 0
		.amdhsa_exception_fp_denorm_src 0
		.amdhsa_exception_fp_ieee_div_zero 0
		.amdhsa_exception_fp_ieee_overflow 0
		.amdhsa_exception_fp_ieee_underflow 0
		.amdhsa_exception_fp_ieee_inexact 0
		.amdhsa_exception_int_div_zero 0
	.end_amdhsa_kernel
	.section	.text._Z18warp_reduce_kernelI6__halfLj64ELj2EENSt9enable_ifIXsr10test_utilsE35device_test_enabled_for_warp_size_vIXT1_EEEvE4typeEPT_S5_,"axG",@progbits,_Z18warp_reduce_kernelI6__halfLj64ELj2EENSt9enable_ifIXsr10test_utilsE35device_test_enabled_for_warp_size_vIXT1_EEEvE4typeEPT_S5_,comdat
.Lfunc_end39:
	.size	_Z18warp_reduce_kernelI6__halfLj64ELj2EENSt9enable_ifIXsr10test_utilsE35device_test_enabled_for_warp_size_vIXT1_EEEvE4typeEPT_S5_, .Lfunc_end39-_Z18warp_reduce_kernelI6__halfLj64ELj2EENSt9enable_ifIXsr10test_utilsE35device_test_enabled_for_warp_size_vIXT1_EEEvE4typeEPT_S5_
                                        ; -- End function
	.section	.AMDGPU.csdata,"",@progbits
; Kernel info:
; codeLenInByte = 152
; NumSgprs: 12
; NumVgprs: 6
; NumAgprs: 0
; TotalNumVgprs: 6
; ScratchSize: 0
; MemoryBound: 0
; FloatMode: 240
; IeeeMode: 1
; LDSByteSize: 0 bytes/workgroup (compile time only)
; SGPRBlocks: 1
; VGPRBlocks: 0
; NumSGPRsForWavesPerEU: 12
; NumVGPRsForWavesPerEU: 6
; AccumOffset: 8
; Occupancy: 8
; WaveLimiterHint : 0
; COMPUTE_PGM_RSRC2:SCRATCH_EN: 0
; COMPUTE_PGM_RSRC2:USER_SGPR: 6
; COMPUTE_PGM_RSRC2:TRAP_HANDLER: 0
; COMPUTE_PGM_RSRC2:TGID_X_EN: 1
; COMPUTE_PGM_RSRC2:TGID_Y_EN: 0
; COMPUTE_PGM_RSRC2:TGID_Z_EN: 0
; COMPUTE_PGM_RSRC2:TIDIG_COMP_CNT: 0
; COMPUTE_PGM_RSRC3_GFX90A:ACCUM_OFFSET: 1
; COMPUTE_PGM_RSRC3_GFX90A:TG_SPLIT: 0
	.section	.text._Z18warp_reduce_kernelI6__halfLj32ELj1EENSt9enable_ifIXsr10test_utilsE35device_test_enabled_for_warp_size_vIXT1_EEEvE4typeEPT_S5_,"axG",@progbits,_Z18warp_reduce_kernelI6__halfLj32ELj1EENSt9enable_ifIXsr10test_utilsE35device_test_enabled_for_warp_size_vIXT1_EEEvE4typeEPT_S5_,comdat
	.protected	_Z18warp_reduce_kernelI6__halfLj32ELj1EENSt9enable_ifIXsr10test_utilsE35device_test_enabled_for_warp_size_vIXT1_EEEvE4typeEPT_S5_ ; -- Begin function _Z18warp_reduce_kernelI6__halfLj32ELj1EENSt9enable_ifIXsr10test_utilsE35device_test_enabled_for_warp_size_vIXT1_EEEvE4typeEPT_S5_
	.globl	_Z18warp_reduce_kernelI6__halfLj32ELj1EENSt9enable_ifIXsr10test_utilsE35device_test_enabled_for_warp_size_vIXT1_EEEvE4typeEPT_S5_
	.p2align	8
	.type	_Z18warp_reduce_kernelI6__halfLj32ELj1EENSt9enable_ifIXsr10test_utilsE35device_test_enabled_for_warp_size_vIXT1_EEEvE4typeEPT_S5_,@function
_Z18warp_reduce_kernelI6__halfLj32ELj1EENSt9enable_ifIXsr10test_utilsE35device_test_enabled_for_warp_size_vIXT1_EEEvE4typeEPT_S5_: ; @_Z18warp_reduce_kernelI6__halfLj32ELj1EENSt9enable_ifIXsr10test_utilsE35device_test_enabled_for_warp_size_vIXT1_EEEvE4typeEPT_S5_
; %bb.0:
	s_load_dword s7, s[4:5], 0x1c
	s_load_dwordx4 s[0:3], s[4:5], 0x0
	v_mov_b32_e32 v1, 0
	s_waitcnt lgkmcnt(0)
	s_and_b32 s4, s7, 0xffff
	s_mul_i32 s6, s6, s4
	v_add_u32_e32 v0, s6, v0
	v_lshlrev_b64 v[0:1], 1, v[0:1]
	v_mov_b32_e32 v3, s1
	v_add_co_u32_e32 v2, vcc, s0, v0
	v_addc_co_u32_e32 v3, vcc, v3, v1, vcc
	global_load_ushort v2, v[2:3], off
	v_mov_b32_e32 v3, s3
	v_add_co_u32_e32 v0, vcc, s2, v0
	v_addc_co_u32_e32 v1, vcc, v3, v1, vcc
	s_waitcnt vmcnt(0)
	global_store_short v[0:1], v2, off
	s_endpgm
	.section	.rodata,"a",@progbits
	.p2align	6, 0x0
	.amdhsa_kernel _Z18warp_reduce_kernelI6__halfLj32ELj1EENSt9enable_ifIXsr10test_utilsE35device_test_enabled_for_warp_size_vIXT1_EEEvE4typeEPT_S5_
		.amdhsa_group_segment_fixed_size 0
		.amdhsa_private_segment_fixed_size 0
		.amdhsa_kernarg_size 272
		.amdhsa_user_sgpr_count 6
		.amdhsa_user_sgpr_private_segment_buffer 1
		.amdhsa_user_sgpr_dispatch_ptr 0
		.amdhsa_user_sgpr_queue_ptr 0
		.amdhsa_user_sgpr_kernarg_segment_ptr 1
		.amdhsa_user_sgpr_dispatch_id 0
		.amdhsa_user_sgpr_flat_scratch_init 0
		.amdhsa_user_sgpr_kernarg_preload_length 0
		.amdhsa_user_sgpr_kernarg_preload_offset 0
		.amdhsa_user_sgpr_private_segment_size 0
		.amdhsa_uses_dynamic_stack 0
		.amdhsa_system_sgpr_private_segment_wavefront_offset 0
		.amdhsa_system_sgpr_workgroup_id_x 1
		.amdhsa_system_sgpr_workgroup_id_y 0
		.amdhsa_system_sgpr_workgroup_id_z 0
		.amdhsa_system_sgpr_workgroup_info 0
		.amdhsa_system_vgpr_workitem_id 0
		.amdhsa_next_free_vgpr 4
		.amdhsa_next_free_sgpr 8
		.amdhsa_accum_offset 4
		.amdhsa_reserve_vcc 1
		.amdhsa_reserve_flat_scratch 0
		.amdhsa_float_round_mode_32 0
		.amdhsa_float_round_mode_16_64 0
		.amdhsa_float_denorm_mode_32 3
		.amdhsa_float_denorm_mode_16_64 3
		.amdhsa_dx10_clamp 1
		.amdhsa_ieee_mode 1
		.amdhsa_fp16_overflow 0
		.amdhsa_tg_split 0
		.amdhsa_exception_fp_ieee_invalid_op 0
		.amdhsa_exception_fp_denorm_src 0
		.amdhsa_exception_fp_ieee_div_zero 0
		.amdhsa_exception_fp_ieee_overflow 0
		.amdhsa_exception_fp_ieee_underflow 0
		.amdhsa_exception_fp_ieee_inexact 0
		.amdhsa_exception_int_div_zero 0
	.end_amdhsa_kernel
	.section	.text._Z18warp_reduce_kernelI6__halfLj32ELj1EENSt9enable_ifIXsr10test_utilsE35device_test_enabled_for_warp_size_vIXT1_EEEvE4typeEPT_S5_,"axG",@progbits,_Z18warp_reduce_kernelI6__halfLj32ELj1EENSt9enable_ifIXsr10test_utilsE35device_test_enabled_for_warp_size_vIXT1_EEEvE4typeEPT_S5_,comdat
.Lfunc_end40:
	.size	_Z18warp_reduce_kernelI6__halfLj32ELj1EENSt9enable_ifIXsr10test_utilsE35device_test_enabled_for_warp_size_vIXT1_EEEvE4typeEPT_S5_, .Lfunc_end40-_Z18warp_reduce_kernelI6__halfLj32ELj1EENSt9enable_ifIXsr10test_utilsE35device_test_enabled_for_warp_size_vIXT1_EEEvE4typeEPT_S5_
                                        ; -- End function
	.section	.AMDGPU.csdata,"",@progbits
; Kernel info:
; codeLenInByte = 96
; NumSgprs: 12
; NumVgprs: 4
; NumAgprs: 0
; TotalNumVgprs: 4
; ScratchSize: 0
; MemoryBound: 0
; FloatMode: 240
; IeeeMode: 1
; LDSByteSize: 0 bytes/workgroup (compile time only)
; SGPRBlocks: 1
; VGPRBlocks: 0
; NumSGPRsForWavesPerEU: 12
; NumVGPRsForWavesPerEU: 4
; AccumOffset: 4
; Occupancy: 8
; WaveLimiterHint : 0
; COMPUTE_PGM_RSRC2:SCRATCH_EN: 0
; COMPUTE_PGM_RSRC2:USER_SGPR: 6
; COMPUTE_PGM_RSRC2:TRAP_HANDLER: 0
; COMPUTE_PGM_RSRC2:TGID_X_EN: 1
; COMPUTE_PGM_RSRC2:TGID_Y_EN: 0
; COMPUTE_PGM_RSRC2:TGID_Z_EN: 0
; COMPUTE_PGM_RSRC2:TIDIG_COMP_CNT: 0
; COMPUTE_PGM_RSRC3_GFX90A:ACCUM_OFFSET: 0
; COMPUTE_PGM_RSRC3_GFX90A:TG_SPLIT: 0
	.section	.text._Z18warp_reduce_kernelI6__halfLj64ELj1EENSt9enable_ifIXsr10test_utilsE35device_test_enabled_for_warp_size_vIXT1_EEEvE4typeEPT_S5_,"axG",@progbits,_Z18warp_reduce_kernelI6__halfLj64ELj1EENSt9enable_ifIXsr10test_utilsE35device_test_enabled_for_warp_size_vIXT1_EEEvE4typeEPT_S5_,comdat
	.protected	_Z18warp_reduce_kernelI6__halfLj64ELj1EENSt9enable_ifIXsr10test_utilsE35device_test_enabled_for_warp_size_vIXT1_EEEvE4typeEPT_S5_ ; -- Begin function _Z18warp_reduce_kernelI6__halfLj64ELj1EENSt9enable_ifIXsr10test_utilsE35device_test_enabled_for_warp_size_vIXT1_EEEvE4typeEPT_S5_
	.globl	_Z18warp_reduce_kernelI6__halfLj64ELj1EENSt9enable_ifIXsr10test_utilsE35device_test_enabled_for_warp_size_vIXT1_EEEvE4typeEPT_S5_
	.p2align	8
	.type	_Z18warp_reduce_kernelI6__halfLj64ELj1EENSt9enable_ifIXsr10test_utilsE35device_test_enabled_for_warp_size_vIXT1_EEEvE4typeEPT_S5_,@function
_Z18warp_reduce_kernelI6__halfLj64ELj1EENSt9enable_ifIXsr10test_utilsE35device_test_enabled_for_warp_size_vIXT1_EEEvE4typeEPT_S5_: ; @_Z18warp_reduce_kernelI6__halfLj64ELj1EENSt9enable_ifIXsr10test_utilsE35device_test_enabled_for_warp_size_vIXT1_EEEvE4typeEPT_S5_
; %bb.0:
	s_load_dword s7, s[4:5], 0x1c
	s_load_dwordx4 s[0:3], s[4:5], 0x0
	v_mov_b32_e32 v1, 0
	s_waitcnt lgkmcnt(0)
	s_and_b32 s4, s7, 0xffff
	s_mul_i32 s6, s6, s4
	v_add_u32_e32 v0, s6, v0
	v_lshlrev_b64 v[0:1], 1, v[0:1]
	v_mov_b32_e32 v3, s1
	v_add_co_u32_e32 v2, vcc, s0, v0
	v_addc_co_u32_e32 v3, vcc, v3, v1, vcc
	global_load_ushort v2, v[2:3], off
	v_mov_b32_e32 v3, s3
	v_add_co_u32_e32 v0, vcc, s2, v0
	v_addc_co_u32_e32 v1, vcc, v3, v1, vcc
	s_waitcnt vmcnt(0)
	global_store_short v[0:1], v2, off
	s_endpgm
	.section	.rodata,"a",@progbits
	.p2align	6, 0x0
	.amdhsa_kernel _Z18warp_reduce_kernelI6__halfLj64ELj1EENSt9enable_ifIXsr10test_utilsE35device_test_enabled_for_warp_size_vIXT1_EEEvE4typeEPT_S5_
		.amdhsa_group_segment_fixed_size 0
		.amdhsa_private_segment_fixed_size 0
		.amdhsa_kernarg_size 272
		.amdhsa_user_sgpr_count 6
		.amdhsa_user_sgpr_private_segment_buffer 1
		.amdhsa_user_sgpr_dispatch_ptr 0
		.amdhsa_user_sgpr_queue_ptr 0
		.amdhsa_user_sgpr_kernarg_segment_ptr 1
		.amdhsa_user_sgpr_dispatch_id 0
		.amdhsa_user_sgpr_flat_scratch_init 0
		.amdhsa_user_sgpr_kernarg_preload_length 0
		.amdhsa_user_sgpr_kernarg_preload_offset 0
		.amdhsa_user_sgpr_private_segment_size 0
		.amdhsa_uses_dynamic_stack 0
		.amdhsa_system_sgpr_private_segment_wavefront_offset 0
		.amdhsa_system_sgpr_workgroup_id_x 1
		.amdhsa_system_sgpr_workgroup_id_y 0
		.amdhsa_system_sgpr_workgroup_id_z 0
		.amdhsa_system_sgpr_workgroup_info 0
		.amdhsa_system_vgpr_workitem_id 0
		.amdhsa_next_free_vgpr 4
		.amdhsa_next_free_sgpr 8
		.amdhsa_accum_offset 4
		.amdhsa_reserve_vcc 1
		.amdhsa_reserve_flat_scratch 0
		.amdhsa_float_round_mode_32 0
		.amdhsa_float_round_mode_16_64 0
		.amdhsa_float_denorm_mode_32 3
		.amdhsa_float_denorm_mode_16_64 3
		.amdhsa_dx10_clamp 1
		.amdhsa_ieee_mode 1
		.amdhsa_fp16_overflow 0
		.amdhsa_tg_split 0
		.amdhsa_exception_fp_ieee_invalid_op 0
		.amdhsa_exception_fp_denorm_src 0
		.amdhsa_exception_fp_ieee_div_zero 0
		.amdhsa_exception_fp_ieee_overflow 0
		.amdhsa_exception_fp_ieee_underflow 0
		.amdhsa_exception_fp_ieee_inexact 0
		.amdhsa_exception_int_div_zero 0
	.end_amdhsa_kernel
	.section	.text._Z18warp_reduce_kernelI6__halfLj64ELj1EENSt9enable_ifIXsr10test_utilsE35device_test_enabled_for_warp_size_vIXT1_EEEvE4typeEPT_S5_,"axG",@progbits,_Z18warp_reduce_kernelI6__halfLj64ELj1EENSt9enable_ifIXsr10test_utilsE35device_test_enabled_for_warp_size_vIXT1_EEEvE4typeEPT_S5_,comdat
.Lfunc_end41:
	.size	_Z18warp_reduce_kernelI6__halfLj64ELj1EENSt9enable_ifIXsr10test_utilsE35device_test_enabled_for_warp_size_vIXT1_EEEvE4typeEPT_S5_, .Lfunc_end41-_Z18warp_reduce_kernelI6__halfLj64ELj1EENSt9enable_ifIXsr10test_utilsE35device_test_enabled_for_warp_size_vIXT1_EEEvE4typeEPT_S5_
                                        ; -- End function
	.section	.AMDGPU.csdata,"",@progbits
; Kernel info:
; codeLenInByte = 96
; NumSgprs: 12
; NumVgprs: 4
; NumAgprs: 0
; TotalNumVgprs: 4
; ScratchSize: 0
; MemoryBound: 0
; FloatMode: 240
; IeeeMode: 1
; LDSByteSize: 0 bytes/workgroup (compile time only)
; SGPRBlocks: 1
; VGPRBlocks: 0
; NumSGPRsForWavesPerEU: 12
; NumVGPRsForWavesPerEU: 4
; AccumOffset: 4
; Occupancy: 8
; WaveLimiterHint : 0
; COMPUTE_PGM_RSRC2:SCRATCH_EN: 0
; COMPUTE_PGM_RSRC2:USER_SGPR: 6
; COMPUTE_PGM_RSRC2:TRAP_HANDLER: 0
; COMPUTE_PGM_RSRC2:TGID_X_EN: 1
; COMPUTE_PGM_RSRC2:TGID_Y_EN: 0
; COMPUTE_PGM_RSRC2:TGID_Z_EN: 0
; COMPUTE_PGM_RSRC2:TIDIG_COMP_CNT: 0
; COMPUTE_PGM_RSRC3_GFX90A:ACCUM_OFFSET: 0
; COMPUTE_PGM_RSRC3_GFX90A:TG_SPLIT: 0
	.section	.text._Z18warp_reduce_kernelIfLj256ELj64EENSt9enable_ifIXsr10test_utilsE35device_test_enabled_for_warp_size_vIXT1_EEEvE4typeEPT_S4_,"axG",@progbits,_Z18warp_reduce_kernelIfLj256ELj64EENSt9enable_ifIXsr10test_utilsE35device_test_enabled_for_warp_size_vIXT1_EEEvE4typeEPT_S4_,comdat
	.protected	_Z18warp_reduce_kernelIfLj256ELj64EENSt9enable_ifIXsr10test_utilsE35device_test_enabled_for_warp_size_vIXT1_EEEvE4typeEPT_S4_ ; -- Begin function _Z18warp_reduce_kernelIfLj256ELj64EENSt9enable_ifIXsr10test_utilsE35device_test_enabled_for_warp_size_vIXT1_EEEvE4typeEPT_S4_
	.globl	_Z18warp_reduce_kernelIfLj256ELj64EENSt9enable_ifIXsr10test_utilsE35device_test_enabled_for_warp_size_vIXT1_EEEvE4typeEPT_S4_
	.p2align	8
	.type	_Z18warp_reduce_kernelIfLj256ELj64EENSt9enable_ifIXsr10test_utilsE35device_test_enabled_for_warp_size_vIXT1_EEEvE4typeEPT_S4_,@function
_Z18warp_reduce_kernelIfLj256ELj64EENSt9enable_ifIXsr10test_utilsE35device_test_enabled_for_warp_size_vIXT1_EEEvE4typeEPT_S4_: ; @_Z18warp_reduce_kernelIfLj256ELj64EENSt9enable_ifIXsr10test_utilsE35device_test_enabled_for_warp_size_vIXT1_EEEvE4typeEPT_S4_
; %bb.0:
	s_load_dword s7, s[4:5], 0x1c
	s_load_dwordx4 s[0:3], s[4:5], 0x0
	v_mov_b32_e32 v3, 0
	s_waitcnt lgkmcnt(0)
	s_and_b32 s4, s7, 0xffff
	s_mul_i32 s6, s6, s4
	v_add_u32_e32 v2, s6, v0
	v_lshlrev_b64 v[4:5], 2, v[2:3]
	v_mov_b32_e32 v1, s1
	v_add_co_u32_e32 v4, vcc, s0, v4
	v_addc_co_u32_e32 v5, vcc, v1, v5, vcc
	global_load_dword v1, v[4:5], off
	v_mbcnt_lo_u32_b32 v3, -1, 0
	v_bfrev_b32_e32 v4, 0.5
	v_mbcnt_hi_u32_b32 v3, -1, v3
	v_lshl_or_b32 v3, v3, 2, v4
	v_and_b32_e32 v0, 63, v0
	v_cmp_eq_u32_e32 vcc, 0, v0
	s_waitcnt vmcnt(0)
	v_mov_b32_dpp v5, v1 quad_perm:[1,0,3,2] row_mask:0xf bank_mask:0xf
	v_add_f32_e32 v1, v1, v5
	s_nop 1
	v_mov_b32_dpp v5, v1 quad_perm:[2,3,0,1] row_mask:0xf bank_mask:0xf
	v_add_f32_e32 v1, v1, v5
	s_nop 1
	v_mov_b32_dpp v5, v1 row_ror:4 row_mask:0xf bank_mask:0xf
	v_add_f32_e32 v1, v1, v5
	s_nop 1
	v_mov_b32_dpp v5, v1 row_ror:8 row_mask:0xf bank_mask:0xf
	v_add_f32_e32 v1, v1, v5
	s_nop 1
	v_mov_b32_dpp v5, v1 row_bcast:15 row_mask:0xf bank_mask:0xf
	v_add_f32_e32 v1, v1, v5
	s_nop 1
	v_mov_b32_dpp v5, v1 row_bcast:31 row_mask:0xf bank_mask:0xf
	v_add_f32_e32 v1, v1, v5
	ds_bpermute_b32 v1, v3, v1
	s_and_saveexec_b64 s[0:1], vcc
	s_cbranch_execz .LBB42_2
; %bb.1:
	v_lshrrev_b32_e32 v0, 4, v2
	v_and_b32_e32 v0, 0xffffffc, v0
	s_waitcnt lgkmcnt(0)
	global_store_dword v0, v1, s[2:3]
.LBB42_2:
	s_endpgm
	.section	.rodata,"a",@progbits
	.p2align	6, 0x0
	.amdhsa_kernel _Z18warp_reduce_kernelIfLj256ELj64EENSt9enable_ifIXsr10test_utilsE35device_test_enabled_for_warp_size_vIXT1_EEEvE4typeEPT_S4_
		.amdhsa_group_segment_fixed_size 0
		.amdhsa_private_segment_fixed_size 0
		.amdhsa_kernarg_size 272
		.amdhsa_user_sgpr_count 6
		.amdhsa_user_sgpr_private_segment_buffer 1
		.amdhsa_user_sgpr_dispatch_ptr 0
		.amdhsa_user_sgpr_queue_ptr 0
		.amdhsa_user_sgpr_kernarg_segment_ptr 1
		.amdhsa_user_sgpr_dispatch_id 0
		.amdhsa_user_sgpr_flat_scratch_init 0
		.amdhsa_user_sgpr_kernarg_preload_length 0
		.amdhsa_user_sgpr_kernarg_preload_offset 0
		.amdhsa_user_sgpr_private_segment_size 0
		.amdhsa_uses_dynamic_stack 0
		.amdhsa_system_sgpr_private_segment_wavefront_offset 0
		.amdhsa_system_sgpr_workgroup_id_x 1
		.amdhsa_system_sgpr_workgroup_id_y 0
		.amdhsa_system_sgpr_workgroup_id_z 0
		.amdhsa_system_sgpr_workgroup_info 0
		.amdhsa_system_vgpr_workitem_id 0
		.amdhsa_next_free_vgpr 6
		.amdhsa_next_free_sgpr 8
		.amdhsa_accum_offset 8
		.amdhsa_reserve_vcc 1
		.amdhsa_reserve_flat_scratch 0
		.amdhsa_float_round_mode_32 0
		.amdhsa_float_round_mode_16_64 0
		.amdhsa_float_denorm_mode_32 3
		.amdhsa_float_denorm_mode_16_64 3
		.amdhsa_dx10_clamp 1
		.amdhsa_ieee_mode 1
		.amdhsa_fp16_overflow 0
		.amdhsa_tg_split 0
		.amdhsa_exception_fp_ieee_invalid_op 0
		.amdhsa_exception_fp_denorm_src 0
		.amdhsa_exception_fp_ieee_div_zero 0
		.amdhsa_exception_fp_ieee_overflow 0
		.amdhsa_exception_fp_ieee_underflow 0
		.amdhsa_exception_fp_ieee_inexact 0
		.amdhsa_exception_int_div_zero 0
	.end_amdhsa_kernel
	.section	.text._Z18warp_reduce_kernelIfLj256ELj64EENSt9enable_ifIXsr10test_utilsE35device_test_enabled_for_warp_size_vIXT1_EEEvE4typeEPT_S4_,"axG",@progbits,_Z18warp_reduce_kernelIfLj256ELj64EENSt9enable_ifIXsr10test_utilsE35device_test_enabled_for_warp_size_vIXT1_EEEvE4typeEPT_S4_,comdat
.Lfunc_end42:
	.size	_Z18warp_reduce_kernelIfLj256ELj64EENSt9enable_ifIXsr10test_utilsE35device_test_enabled_for_warp_size_vIXT1_EEEvE4typeEPT_S4_, .Lfunc_end42-_Z18warp_reduce_kernelIfLj256ELj64EENSt9enable_ifIXsr10test_utilsE35device_test_enabled_for_warp_size_vIXT1_EEEvE4typeEPT_S4_
                                        ; -- End function
	.section	.AMDGPU.csdata,"",@progbits
; Kernel info:
; codeLenInByte = 244
; NumSgprs: 12
; NumVgprs: 6
; NumAgprs: 0
; TotalNumVgprs: 6
; ScratchSize: 0
; MemoryBound: 0
; FloatMode: 240
; IeeeMode: 1
; LDSByteSize: 0 bytes/workgroup (compile time only)
; SGPRBlocks: 1
; VGPRBlocks: 0
; NumSGPRsForWavesPerEU: 12
; NumVGPRsForWavesPerEU: 6
; AccumOffset: 8
; Occupancy: 8
; WaveLimiterHint : 0
; COMPUTE_PGM_RSRC2:SCRATCH_EN: 0
; COMPUTE_PGM_RSRC2:USER_SGPR: 6
; COMPUTE_PGM_RSRC2:TRAP_HANDLER: 0
; COMPUTE_PGM_RSRC2:TGID_X_EN: 1
; COMPUTE_PGM_RSRC2:TGID_Y_EN: 0
; COMPUTE_PGM_RSRC2:TGID_Z_EN: 0
; COMPUTE_PGM_RSRC2:TIDIG_COMP_CNT: 0
; COMPUTE_PGM_RSRC3_GFX90A:ACCUM_OFFSET: 1
; COMPUTE_PGM_RSRC3_GFX90A:TG_SPLIT: 0
	.section	.text._Z18warp_reduce_kernelIfLj128ELj32EENSt9enable_ifIXsr10test_utilsE35device_test_enabled_for_warp_size_vIXT1_EEEvE4typeEPT_S4_,"axG",@progbits,_Z18warp_reduce_kernelIfLj128ELj32EENSt9enable_ifIXsr10test_utilsE35device_test_enabled_for_warp_size_vIXT1_EEEvE4typeEPT_S4_,comdat
	.protected	_Z18warp_reduce_kernelIfLj128ELj32EENSt9enable_ifIXsr10test_utilsE35device_test_enabled_for_warp_size_vIXT1_EEEvE4typeEPT_S4_ ; -- Begin function _Z18warp_reduce_kernelIfLj128ELj32EENSt9enable_ifIXsr10test_utilsE35device_test_enabled_for_warp_size_vIXT1_EEEvE4typeEPT_S4_
	.globl	_Z18warp_reduce_kernelIfLj128ELj32EENSt9enable_ifIXsr10test_utilsE35device_test_enabled_for_warp_size_vIXT1_EEEvE4typeEPT_S4_
	.p2align	8
	.type	_Z18warp_reduce_kernelIfLj128ELj32EENSt9enable_ifIXsr10test_utilsE35device_test_enabled_for_warp_size_vIXT1_EEEvE4typeEPT_S4_,@function
_Z18warp_reduce_kernelIfLj128ELj32EENSt9enable_ifIXsr10test_utilsE35device_test_enabled_for_warp_size_vIXT1_EEEvE4typeEPT_S4_: ; @_Z18warp_reduce_kernelIfLj128ELj32EENSt9enable_ifIXsr10test_utilsE35device_test_enabled_for_warp_size_vIXT1_EEEvE4typeEPT_S4_
; %bb.0:
	s_load_dword s7, s[4:5], 0x1c
	s_load_dwordx4 s[0:3], s[4:5], 0x0
	v_mov_b32_e32 v3, 0
	s_waitcnt lgkmcnt(0)
	s_and_b32 s4, s7, 0xffff
	s_mul_i32 s6, s6, s4
	v_add_u32_e32 v2, s6, v0
	v_lshlrev_b64 v[4:5], 2, v[2:3]
	v_mov_b32_e32 v1, s1
	v_add_co_u32_e32 v4, vcc, s0, v4
	v_addc_co_u32_e32 v5, vcc, v1, v5, vcc
	global_load_dword v1, v[4:5], off
	v_mbcnt_lo_u32_b32 v3, -1, 0
	v_mbcnt_hi_u32_b32 v3, -1, v3
	v_and_b32_e32 v4, 31, v3
	v_cmp_ne_u32_e32 vcc, 31, v4
	v_addc_co_u32_e32 v5, vcc, 0, v3, vcc
	v_lshlrev_b32_e32 v5, 2, v5
	v_cmp_gt_u32_e32 vcc, 30, v4
	v_cndmask_b32_e64 v6, 0, 1, vcc
	v_lshlrev_b32_e32 v6, 1, v6
	v_add_lshl_u32 v6, v6, v3, 2
	v_cmp_gt_u32_e32 vcc, 28, v4
	v_and_b32_e32 v0, 31, v0
	s_waitcnt vmcnt(0)
	ds_bpermute_b32 v5, v5, v1
	s_waitcnt lgkmcnt(0)
	v_add_f32_e32 v1, v1, v5
	ds_bpermute_b32 v5, v6, v1
	v_cndmask_b32_e64 v6, 0, 1, vcc
	v_lshlrev_b32_e32 v6, 2, v6
	v_add_lshl_u32 v6, v6, v3, 2
	v_cmp_gt_u32_e32 vcc, 24, v4
	s_waitcnt lgkmcnt(0)
	v_add_f32_e32 v1, v1, v5
	ds_bpermute_b32 v5, v6, v1
	v_cndmask_b32_e64 v6, 0, 1, vcc
	v_lshlrev_b32_e32 v6, 3, v6
	v_add_lshl_u32 v6, v6, v3, 2
	v_cmp_gt_u32_e32 vcc, 16, v4
	s_waitcnt lgkmcnt(0)
	v_add_f32_e32 v1, v1, v5
	ds_bpermute_b32 v5, v6, v1
	v_cndmask_b32_e64 v4, 0, 1, vcc
	v_lshlrev_b32_e32 v4, 4, v4
	v_add_lshl_u32 v3, v4, v3, 2
	v_cmp_eq_u32_e32 vcc, 0, v0
	s_waitcnt lgkmcnt(0)
	v_add_f32_e32 v1, v1, v5
	ds_bpermute_b32 v3, v3, v1
	s_and_saveexec_b64 s[0:1], vcc
	s_cbranch_execz .LBB43_2
; %bb.1:
	v_lshrrev_b32_e32 v0, 3, v2
	v_and_b32_e32 v0, 0x1ffffffc, v0
	s_waitcnt lgkmcnt(0)
	v_add_f32_e32 v1, v1, v3
	global_store_dword v0, v1, s[2:3]
.LBB43_2:
	s_endpgm
	.section	.rodata,"a",@progbits
	.p2align	6, 0x0
	.amdhsa_kernel _Z18warp_reduce_kernelIfLj128ELj32EENSt9enable_ifIXsr10test_utilsE35device_test_enabled_for_warp_size_vIXT1_EEEvE4typeEPT_S4_
		.amdhsa_group_segment_fixed_size 0
		.amdhsa_private_segment_fixed_size 0
		.amdhsa_kernarg_size 272
		.amdhsa_user_sgpr_count 6
		.amdhsa_user_sgpr_private_segment_buffer 1
		.amdhsa_user_sgpr_dispatch_ptr 0
		.amdhsa_user_sgpr_queue_ptr 0
		.amdhsa_user_sgpr_kernarg_segment_ptr 1
		.amdhsa_user_sgpr_dispatch_id 0
		.amdhsa_user_sgpr_flat_scratch_init 0
		.amdhsa_user_sgpr_kernarg_preload_length 0
		.amdhsa_user_sgpr_kernarg_preload_offset 0
		.amdhsa_user_sgpr_private_segment_size 0
		.amdhsa_uses_dynamic_stack 0
		.amdhsa_system_sgpr_private_segment_wavefront_offset 0
		.amdhsa_system_sgpr_workgroup_id_x 1
		.amdhsa_system_sgpr_workgroup_id_y 0
		.amdhsa_system_sgpr_workgroup_id_z 0
		.amdhsa_system_sgpr_workgroup_info 0
		.amdhsa_system_vgpr_workitem_id 0
		.amdhsa_next_free_vgpr 7
		.amdhsa_next_free_sgpr 8
		.amdhsa_accum_offset 8
		.amdhsa_reserve_vcc 1
		.amdhsa_reserve_flat_scratch 0
		.amdhsa_float_round_mode_32 0
		.amdhsa_float_round_mode_16_64 0
		.amdhsa_float_denorm_mode_32 3
		.amdhsa_float_denorm_mode_16_64 3
		.amdhsa_dx10_clamp 1
		.amdhsa_ieee_mode 1
		.amdhsa_fp16_overflow 0
		.amdhsa_tg_split 0
		.amdhsa_exception_fp_ieee_invalid_op 0
		.amdhsa_exception_fp_denorm_src 0
		.amdhsa_exception_fp_ieee_div_zero 0
		.amdhsa_exception_fp_ieee_overflow 0
		.amdhsa_exception_fp_ieee_underflow 0
		.amdhsa_exception_fp_ieee_inexact 0
		.amdhsa_exception_int_div_zero 0
	.end_amdhsa_kernel
	.section	.text._Z18warp_reduce_kernelIfLj128ELj32EENSt9enable_ifIXsr10test_utilsE35device_test_enabled_for_warp_size_vIXT1_EEEvE4typeEPT_S4_,"axG",@progbits,_Z18warp_reduce_kernelIfLj128ELj32EENSt9enable_ifIXsr10test_utilsE35device_test_enabled_for_warp_size_vIXT1_EEEvE4typeEPT_S4_,comdat
.Lfunc_end43:
	.size	_Z18warp_reduce_kernelIfLj128ELj32EENSt9enable_ifIXsr10test_utilsE35device_test_enabled_for_warp_size_vIXT1_EEEvE4typeEPT_S4_, .Lfunc_end43-_Z18warp_reduce_kernelIfLj128ELj32EENSt9enable_ifIXsr10test_utilsE35device_test_enabled_for_warp_size_vIXT1_EEEvE4typeEPT_S4_
                                        ; -- End function
	.section	.AMDGPU.csdata,"",@progbits
; Kernel info:
; codeLenInByte = 320
; NumSgprs: 12
; NumVgprs: 7
; NumAgprs: 0
; TotalNumVgprs: 7
; ScratchSize: 0
; MemoryBound: 0
; FloatMode: 240
; IeeeMode: 1
; LDSByteSize: 0 bytes/workgroup (compile time only)
; SGPRBlocks: 1
; VGPRBlocks: 0
; NumSGPRsForWavesPerEU: 12
; NumVGPRsForWavesPerEU: 7
; AccumOffset: 8
; Occupancy: 8
; WaveLimiterHint : 0
; COMPUTE_PGM_RSRC2:SCRATCH_EN: 0
; COMPUTE_PGM_RSRC2:USER_SGPR: 6
; COMPUTE_PGM_RSRC2:TRAP_HANDLER: 0
; COMPUTE_PGM_RSRC2:TGID_X_EN: 1
; COMPUTE_PGM_RSRC2:TGID_Y_EN: 0
; COMPUTE_PGM_RSRC2:TGID_Z_EN: 0
; COMPUTE_PGM_RSRC2:TIDIG_COMP_CNT: 0
; COMPUTE_PGM_RSRC3_GFX90A:ACCUM_OFFSET: 1
; COMPUTE_PGM_RSRC3_GFX90A:TG_SPLIT: 0
	.section	.text._Z18warp_reduce_kernelIfLj64ELj16EENSt9enable_ifIXsr10test_utilsE35device_test_enabled_for_warp_size_vIXT1_EEEvE4typeEPT_S4_,"axG",@progbits,_Z18warp_reduce_kernelIfLj64ELj16EENSt9enable_ifIXsr10test_utilsE35device_test_enabled_for_warp_size_vIXT1_EEEvE4typeEPT_S4_,comdat
	.protected	_Z18warp_reduce_kernelIfLj64ELj16EENSt9enable_ifIXsr10test_utilsE35device_test_enabled_for_warp_size_vIXT1_EEEvE4typeEPT_S4_ ; -- Begin function _Z18warp_reduce_kernelIfLj64ELj16EENSt9enable_ifIXsr10test_utilsE35device_test_enabled_for_warp_size_vIXT1_EEEvE4typeEPT_S4_
	.globl	_Z18warp_reduce_kernelIfLj64ELj16EENSt9enable_ifIXsr10test_utilsE35device_test_enabled_for_warp_size_vIXT1_EEEvE4typeEPT_S4_
	.p2align	8
	.type	_Z18warp_reduce_kernelIfLj64ELj16EENSt9enable_ifIXsr10test_utilsE35device_test_enabled_for_warp_size_vIXT1_EEEvE4typeEPT_S4_,@function
_Z18warp_reduce_kernelIfLj64ELj16EENSt9enable_ifIXsr10test_utilsE35device_test_enabled_for_warp_size_vIXT1_EEEvE4typeEPT_S4_: ; @_Z18warp_reduce_kernelIfLj64ELj16EENSt9enable_ifIXsr10test_utilsE35device_test_enabled_for_warp_size_vIXT1_EEEvE4typeEPT_S4_
; %bb.0:
	s_load_dword s7, s[4:5], 0x1c
	s_load_dwordx4 s[0:3], s[4:5], 0x0
	v_mov_b32_e32 v3, 0
	s_waitcnt lgkmcnt(0)
	s_and_b32 s4, s7, 0xffff
	s_mul_i32 s6, s6, s4
	v_add_u32_e32 v2, s6, v0
	v_lshlrev_b64 v[4:5], 2, v[2:3]
	v_mov_b32_e32 v1, s1
	v_add_co_u32_e32 v4, vcc, s0, v4
	v_addc_co_u32_e32 v5, vcc, v1, v5, vcc
	global_load_dword v1, v[4:5], off
	v_mbcnt_lo_u32_b32 v3, -1, 0
	v_mbcnt_hi_u32_b32 v3, -1, v3
	v_and_b32_e32 v4, 15, v3
	v_cmp_ne_u32_e32 vcc, 15, v4
	v_addc_co_u32_e32 v5, vcc, 0, v3, vcc
	v_lshlrev_b32_e32 v5, 2, v5
	v_cmp_gt_u32_e32 vcc, 14, v4
	v_cndmask_b32_e64 v6, 0, 1, vcc
	v_lshlrev_b32_e32 v6, 1, v6
	v_add_lshl_u32 v6, v6, v3, 2
	v_cmp_gt_u32_e32 vcc, 12, v4
	v_and_b32_e32 v0, 15, v0
	s_waitcnt vmcnt(0)
	ds_bpermute_b32 v5, v5, v1
	s_waitcnt lgkmcnt(0)
	v_add_f32_e32 v1, v1, v5
	ds_bpermute_b32 v5, v6, v1
	v_cndmask_b32_e64 v6, 0, 1, vcc
	v_lshlrev_b32_e32 v6, 2, v6
	v_add_lshl_u32 v6, v6, v3, 2
	v_cmp_gt_u32_e32 vcc, 8, v4
	s_waitcnt lgkmcnt(0)
	v_add_f32_e32 v1, v1, v5
	ds_bpermute_b32 v5, v6, v1
	v_cndmask_b32_e64 v4, 0, 1, vcc
	v_lshlrev_b32_e32 v4, 3, v4
	v_add_lshl_u32 v3, v4, v3, 2
	v_cmp_eq_u32_e32 vcc, 0, v0
	s_waitcnt lgkmcnt(0)
	v_add_f32_e32 v1, v1, v5
	ds_bpermute_b32 v3, v3, v1
	s_and_saveexec_b64 s[0:1], vcc
	s_cbranch_execz .LBB44_2
; %bb.1:
	v_lshrrev_b32_e32 v0, 2, v2
	v_and_b32_e32 v0, 0x3ffffffc, v0
	s_waitcnt lgkmcnt(0)
	v_add_f32_e32 v1, v1, v3
	global_store_dword v0, v1, s[2:3]
.LBB44_2:
	s_endpgm
	.section	.rodata,"a",@progbits
	.p2align	6, 0x0
	.amdhsa_kernel _Z18warp_reduce_kernelIfLj64ELj16EENSt9enable_ifIXsr10test_utilsE35device_test_enabled_for_warp_size_vIXT1_EEEvE4typeEPT_S4_
		.amdhsa_group_segment_fixed_size 0
		.amdhsa_private_segment_fixed_size 0
		.amdhsa_kernarg_size 272
		.amdhsa_user_sgpr_count 6
		.amdhsa_user_sgpr_private_segment_buffer 1
		.amdhsa_user_sgpr_dispatch_ptr 0
		.amdhsa_user_sgpr_queue_ptr 0
		.amdhsa_user_sgpr_kernarg_segment_ptr 1
		.amdhsa_user_sgpr_dispatch_id 0
		.amdhsa_user_sgpr_flat_scratch_init 0
		.amdhsa_user_sgpr_kernarg_preload_length 0
		.amdhsa_user_sgpr_kernarg_preload_offset 0
		.amdhsa_user_sgpr_private_segment_size 0
		.amdhsa_uses_dynamic_stack 0
		.amdhsa_system_sgpr_private_segment_wavefront_offset 0
		.amdhsa_system_sgpr_workgroup_id_x 1
		.amdhsa_system_sgpr_workgroup_id_y 0
		.amdhsa_system_sgpr_workgroup_id_z 0
		.amdhsa_system_sgpr_workgroup_info 0
		.amdhsa_system_vgpr_workitem_id 0
		.amdhsa_next_free_vgpr 7
		.amdhsa_next_free_sgpr 8
		.amdhsa_accum_offset 8
		.amdhsa_reserve_vcc 1
		.amdhsa_reserve_flat_scratch 0
		.amdhsa_float_round_mode_32 0
		.amdhsa_float_round_mode_16_64 0
		.amdhsa_float_denorm_mode_32 3
		.amdhsa_float_denorm_mode_16_64 3
		.amdhsa_dx10_clamp 1
		.amdhsa_ieee_mode 1
		.amdhsa_fp16_overflow 0
		.amdhsa_tg_split 0
		.amdhsa_exception_fp_ieee_invalid_op 0
		.amdhsa_exception_fp_denorm_src 0
		.amdhsa_exception_fp_ieee_div_zero 0
		.amdhsa_exception_fp_ieee_overflow 0
		.amdhsa_exception_fp_ieee_underflow 0
		.amdhsa_exception_fp_ieee_inexact 0
		.amdhsa_exception_int_div_zero 0
	.end_amdhsa_kernel
	.section	.text._Z18warp_reduce_kernelIfLj64ELj16EENSt9enable_ifIXsr10test_utilsE35device_test_enabled_for_warp_size_vIXT1_EEEvE4typeEPT_S4_,"axG",@progbits,_Z18warp_reduce_kernelIfLj64ELj16EENSt9enable_ifIXsr10test_utilsE35device_test_enabled_for_warp_size_vIXT1_EEEvE4typeEPT_S4_,comdat
.Lfunc_end44:
	.size	_Z18warp_reduce_kernelIfLj64ELj16EENSt9enable_ifIXsr10test_utilsE35device_test_enabled_for_warp_size_vIXT1_EEEvE4typeEPT_S4_, .Lfunc_end44-_Z18warp_reduce_kernelIfLj64ELj16EENSt9enable_ifIXsr10test_utilsE35device_test_enabled_for_warp_size_vIXT1_EEEvE4typeEPT_S4_
                                        ; -- End function
	.section	.AMDGPU.csdata,"",@progbits
; Kernel info:
; codeLenInByte = 280
; NumSgprs: 12
; NumVgprs: 7
; NumAgprs: 0
; TotalNumVgprs: 7
; ScratchSize: 0
; MemoryBound: 0
; FloatMode: 240
; IeeeMode: 1
; LDSByteSize: 0 bytes/workgroup (compile time only)
; SGPRBlocks: 1
; VGPRBlocks: 0
; NumSGPRsForWavesPerEU: 12
; NumVGPRsForWavesPerEU: 7
; AccumOffset: 8
; Occupancy: 8
; WaveLimiterHint : 0
; COMPUTE_PGM_RSRC2:SCRATCH_EN: 0
; COMPUTE_PGM_RSRC2:USER_SGPR: 6
; COMPUTE_PGM_RSRC2:TRAP_HANDLER: 0
; COMPUTE_PGM_RSRC2:TGID_X_EN: 1
; COMPUTE_PGM_RSRC2:TGID_Y_EN: 0
; COMPUTE_PGM_RSRC2:TGID_Z_EN: 0
; COMPUTE_PGM_RSRC2:TIDIG_COMP_CNT: 0
; COMPUTE_PGM_RSRC3_GFX90A:ACCUM_OFFSET: 1
; COMPUTE_PGM_RSRC3_GFX90A:TG_SPLIT: 0
	.section	.text._Z18warp_reduce_kernelIfLj32ELj8EENSt9enable_ifIXsr10test_utilsE35device_test_enabled_for_warp_size_vIXT1_EEEvE4typeEPT_S4_,"axG",@progbits,_Z18warp_reduce_kernelIfLj32ELj8EENSt9enable_ifIXsr10test_utilsE35device_test_enabled_for_warp_size_vIXT1_EEEvE4typeEPT_S4_,comdat
	.protected	_Z18warp_reduce_kernelIfLj32ELj8EENSt9enable_ifIXsr10test_utilsE35device_test_enabled_for_warp_size_vIXT1_EEEvE4typeEPT_S4_ ; -- Begin function _Z18warp_reduce_kernelIfLj32ELj8EENSt9enable_ifIXsr10test_utilsE35device_test_enabled_for_warp_size_vIXT1_EEEvE4typeEPT_S4_
	.globl	_Z18warp_reduce_kernelIfLj32ELj8EENSt9enable_ifIXsr10test_utilsE35device_test_enabled_for_warp_size_vIXT1_EEEvE4typeEPT_S4_
	.p2align	8
	.type	_Z18warp_reduce_kernelIfLj32ELj8EENSt9enable_ifIXsr10test_utilsE35device_test_enabled_for_warp_size_vIXT1_EEEvE4typeEPT_S4_,@function
_Z18warp_reduce_kernelIfLj32ELj8EENSt9enable_ifIXsr10test_utilsE35device_test_enabled_for_warp_size_vIXT1_EEEvE4typeEPT_S4_: ; @_Z18warp_reduce_kernelIfLj32ELj8EENSt9enable_ifIXsr10test_utilsE35device_test_enabled_for_warp_size_vIXT1_EEEvE4typeEPT_S4_
; %bb.0:
	s_load_dword s7, s[4:5], 0x1c
	s_load_dwordx4 s[0:3], s[4:5], 0x0
	v_mov_b32_e32 v3, 0
	s_waitcnt lgkmcnt(0)
	s_and_b32 s4, s7, 0xffff
	s_mul_i32 s6, s6, s4
	v_add_u32_e32 v2, s6, v0
	v_lshlrev_b64 v[4:5], 2, v[2:3]
	v_mov_b32_e32 v1, s1
	v_add_co_u32_e32 v4, vcc, s0, v4
	v_addc_co_u32_e32 v5, vcc, v1, v5, vcc
	global_load_dword v1, v[4:5], off
	v_mbcnt_lo_u32_b32 v3, -1, 0
	v_mbcnt_hi_u32_b32 v3, -1, v3
	v_and_b32_e32 v4, 7, v3
	v_cmp_ne_u32_e32 vcc, 7, v4
	v_addc_co_u32_e32 v5, vcc, 0, v3, vcc
	v_lshlrev_b32_e32 v5, 2, v5
	v_cmp_gt_u32_e32 vcc, 6, v4
	v_cndmask_b32_e64 v6, 0, 1, vcc
	v_lshlrev_b32_e32 v6, 1, v6
	v_add_lshl_u32 v6, v6, v3, 2
	v_cmp_gt_u32_e32 vcc, 4, v4
	v_cndmask_b32_e64 v4, 0, 1, vcc
	v_lshlrev_b32_e32 v4, 2, v4
	v_add_lshl_u32 v3, v4, v3, 2
	v_and_b32_e32 v0, 7, v0
	v_cmp_eq_u32_e32 vcc, 0, v0
	s_waitcnt vmcnt(0)
	ds_bpermute_b32 v5, v5, v1
	s_waitcnt lgkmcnt(0)
	v_add_f32_e32 v1, v1, v5
	ds_bpermute_b32 v5, v6, v1
	s_waitcnt lgkmcnt(0)
	v_add_f32_e32 v1, v1, v5
	ds_bpermute_b32 v3, v3, v1
	s_and_saveexec_b64 s[0:1], vcc
	s_cbranch_execz .LBB45_2
; %bb.1:
	v_lshrrev_b32_e32 v0, 1, v2
	v_and_b32_e32 v0, 0x7ffffffc, v0
	s_waitcnt lgkmcnt(0)
	v_add_f32_e32 v1, v1, v3
	global_store_dword v0, v1, s[2:3]
.LBB45_2:
	s_endpgm
	.section	.rodata,"a",@progbits
	.p2align	6, 0x0
	.amdhsa_kernel _Z18warp_reduce_kernelIfLj32ELj8EENSt9enable_ifIXsr10test_utilsE35device_test_enabled_for_warp_size_vIXT1_EEEvE4typeEPT_S4_
		.amdhsa_group_segment_fixed_size 0
		.amdhsa_private_segment_fixed_size 0
		.amdhsa_kernarg_size 272
		.amdhsa_user_sgpr_count 6
		.amdhsa_user_sgpr_private_segment_buffer 1
		.amdhsa_user_sgpr_dispatch_ptr 0
		.amdhsa_user_sgpr_queue_ptr 0
		.amdhsa_user_sgpr_kernarg_segment_ptr 1
		.amdhsa_user_sgpr_dispatch_id 0
		.amdhsa_user_sgpr_flat_scratch_init 0
		.amdhsa_user_sgpr_kernarg_preload_length 0
		.amdhsa_user_sgpr_kernarg_preload_offset 0
		.amdhsa_user_sgpr_private_segment_size 0
		.amdhsa_uses_dynamic_stack 0
		.amdhsa_system_sgpr_private_segment_wavefront_offset 0
		.amdhsa_system_sgpr_workgroup_id_x 1
		.amdhsa_system_sgpr_workgroup_id_y 0
		.amdhsa_system_sgpr_workgroup_id_z 0
		.amdhsa_system_sgpr_workgroup_info 0
		.amdhsa_system_vgpr_workitem_id 0
		.amdhsa_next_free_vgpr 7
		.amdhsa_next_free_sgpr 8
		.amdhsa_accum_offset 8
		.amdhsa_reserve_vcc 1
		.amdhsa_reserve_flat_scratch 0
		.amdhsa_float_round_mode_32 0
		.amdhsa_float_round_mode_16_64 0
		.amdhsa_float_denorm_mode_32 3
		.amdhsa_float_denorm_mode_16_64 3
		.amdhsa_dx10_clamp 1
		.amdhsa_ieee_mode 1
		.amdhsa_fp16_overflow 0
		.amdhsa_tg_split 0
		.amdhsa_exception_fp_ieee_invalid_op 0
		.amdhsa_exception_fp_denorm_src 0
		.amdhsa_exception_fp_ieee_div_zero 0
		.amdhsa_exception_fp_ieee_overflow 0
		.amdhsa_exception_fp_ieee_underflow 0
		.amdhsa_exception_fp_ieee_inexact 0
		.amdhsa_exception_int_div_zero 0
	.end_amdhsa_kernel
	.section	.text._Z18warp_reduce_kernelIfLj32ELj8EENSt9enable_ifIXsr10test_utilsE35device_test_enabled_for_warp_size_vIXT1_EEEvE4typeEPT_S4_,"axG",@progbits,_Z18warp_reduce_kernelIfLj32ELj8EENSt9enable_ifIXsr10test_utilsE35device_test_enabled_for_warp_size_vIXT1_EEEvE4typeEPT_S4_,comdat
.Lfunc_end45:
	.size	_Z18warp_reduce_kernelIfLj32ELj8EENSt9enable_ifIXsr10test_utilsE35device_test_enabled_for_warp_size_vIXT1_EEEvE4typeEPT_S4_, .Lfunc_end45-_Z18warp_reduce_kernelIfLj32ELj8EENSt9enable_ifIXsr10test_utilsE35device_test_enabled_for_warp_size_vIXT1_EEEvE4typeEPT_S4_
                                        ; -- End function
	.section	.AMDGPU.csdata,"",@progbits
; Kernel info:
; codeLenInByte = 240
; NumSgprs: 12
; NumVgprs: 7
; NumAgprs: 0
; TotalNumVgprs: 7
; ScratchSize: 0
; MemoryBound: 0
; FloatMode: 240
; IeeeMode: 1
; LDSByteSize: 0 bytes/workgroup (compile time only)
; SGPRBlocks: 1
; VGPRBlocks: 0
; NumSGPRsForWavesPerEU: 12
; NumVGPRsForWavesPerEU: 7
; AccumOffset: 8
; Occupancy: 8
; WaveLimiterHint : 0
; COMPUTE_PGM_RSRC2:SCRATCH_EN: 0
; COMPUTE_PGM_RSRC2:USER_SGPR: 6
; COMPUTE_PGM_RSRC2:TRAP_HANDLER: 0
; COMPUTE_PGM_RSRC2:TGID_X_EN: 1
; COMPUTE_PGM_RSRC2:TGID_Y_EN: 0
; COMPUTE_PGM_RSRC2:TGID_Z_EN: 0
; COMPUTE_PGM_RSRC2:TIDIG_COMP_CNT: 0
; COMPUTE_PGM_RSRC3_GFX90A:ACCUM_OFFSET: 1
; COMPUTE_PGM_RSRC3_GFX90A:TG_SPLIT: 0
	.section	.text._Z18warp_reduce_kernelIfLj64ELj8EENSt9enable_ifIXsr10test_utilsE35device_test_enabled_for_warp_size_vIXT1_EEEvE4typeEPT_S4_,"axG",@progbits,_Z18warp_reduce_kernelIfLj64ELj8EENSt9enable_ifIXsr10test_utilsE35device_test_enabled_for_warp_size_vIXT1_EEEvE4typeEPT_S4_,comdat
	.protected	_Z18warp_reduce_kernelIfLj64ELj8EENSt9enable_ifIXsr10test_utilsE35device_test_enabled_for_warp_size_vIXT1_EEEvE4typeEPT_S4_ ; -- Begin function _Z18warp_reduce_kernelIfLj64ELj8EENSt9enable_ifIXsr10test_utilsE35device_test_enabled_for_warp_size_vIXT1_EEEvE4typeEPT_S4_
	.globl	_Z18warp_reduce_kernelIfLj64ELj8EENSt9enable_ifIXsr10test_utilsE35device_test_enabled_for_warp_size_vIXT1_EEEvE4typeEPT_S4_
	.p2align	8
	.type	_Z18warp_reduce_kernelIfLj64ELj8EENSt9enable_ifIXsr10test_utilsE35device_test_enabled_for_warp_size_vIXT1_EEEvE4typeEPT_S4_,@function
_Z18warp_reduce_kernelIfLj64ELj8EENSt9enable_ifIXsr10test_utilsE35device_test_enabled_for_warp_size_vIXT1_EEEvE4typeEPT_S4_: ; @_Z18warp_reduce_kernelIfLj64ELj8EENSt9enable_ifIXsr10test_utilsE35device_test_enabled_for_warp_size_vIXT1_EEEvE4typeEPT_S4_
; %bb.0:
	s_load_dword s7, s[4:5], 0x1c
	s_load_dwordx4 s[0:3], s[4:5], 0x0
	v_mov_b32_e32 v3, 0
	s_waitcnt lgkmcnt(0)
	s_and_b32 s4, s7, 0xffff
	s_mul_i32 s6, s6, s4
	v_add_u32_e32 v2, s6, v0
	v_lshlrev_b64 v[4:5], 2, v[2:3]
	v_mov_b32_e32 v1, s1
	v_add_co_u32_e32 v4, vcc, s0, v4
	v_addc_co_u32_e32 v5, vcc, v1, v5, vcc
	global_load_dword v1, v[4:5], off
	v_mbcnt_lo_u32_b32 v3, -1, 0
	v_mbcnt_hi_u32_b32 v3, -1, v3
	v_and_b32_e32 v4, 7, v3
	v_cmp_ne_u32_e32 vcc, 7, v4
	v_addc_co_u32_e32 v5, vcc, 0, v3, vcc
	v_lshlrev_b32_e32 v5, 2, v5
	v_cmp_gt_u32_e32 vcc, 6, v4
	v_cndmask_b32_e64 v6, 0, 1, vcc
	v_lshlrev_b32_e32 v6, 1, v6
	v_add_lshl_u32 v6, v6, v3, 2
	v_cmp_gt_u32_e32 vcc, 4, v4
	v_cndmask_b32_e64 v4, 0, 1, vcc
	v_lshlrev_b32_e32 v4, 2, v4
	v_add_lshl_u32 v3, v4, v3, 2
	v_and_b32_e32 v0, 7, v0
	v_cmp_eq_u32_e32 vcc, 0, v0
	s_waitcnt vmcnt(0)
	ds_bpermute_b32 v5, v5, v1
	s_waitcnt lgkmcnt(0)
	v_add_f32_e32 v1, v1, v5
	ds_bpermute_b32 v5, v6, v1
	s_waitcnt lgkmcnt(0)
	v_add_f32_e32 v1, v1, v5
	ds_bpermute_b32 v3, v3, v1
	s_and_saveexec_b64 s[0:1], vcc
	s_cbranch_execz .LBB46_2
; %bb.1:
	v_lshrrev_b32_e32 v0, 1, v2
	v_and_b32_e32 v0, 0x7ffffffc, v0
	s_waitcnt lgkmcnt(0)
	v_add_f32_e32 v1, v1, v3
	global_store_dword v0, v1, s[2:3]
.LBB46_2:
	s_endpgm
	.section	.rodata,"a",@progbits
	.p2align	6, 0x0
	.amdhsa_kernel _Z18warp_reduce_kernelIfLj64ELj8EENSt9enable_ifIXsr10test_utilsE35device_test_enabled_for_warp_size_vIXT1_EEEvE4typeEPT_S4_
		.amdhsa_group_segment_fixed_size 0
		.amdhsa_private_segment_fixed_size 0
		.amdhsa_kernarg_size 272
		.amdhsa_user_sgpr_count 6
		.amdhsa_user_sgpr_private_segment_buffer 1
		.amdhsa_user_sgpr_dispatch_ptr 0
		.amdhsa_user_sgpr_queue_ptr 0
		.amdhsa_user_sgpr_kernarg_segment_ptr 1
		.amdhsa_user_sgpr_dispatch_id 0
		.amdhsa_user_sgpr_flat_scratch_init 0
		.amdhsa_user_sgpr_kernarg_preload_length 0
		.amdhsa_user_sgpr_kernarg_preload_offset 0
		.amdhsa_user_sgpr_private_segment_size 0
		.amdhsa_uses_dynamic_stack 0
		.amdhsa_system_sgpr_private_segment_wavefront_offset 0
		.amdhsa_system_sgpr_workgroup_id_x 1
		.amdhsa_system_sgpr_workgroup_id_y 0
		.amdhsa_system_sgpr_workgroup_id_z 0
		.amdhsa_system_sgpr_workgroup_info 0
		.amdhsa_system_vgpr_workitem_id 0
		.amdhsa_next_free_vgpr 7
		.amdhsa_next_free_sgpr 8
		.amdhsa_accum_offset 8
		.amdhsa_reserve_vcc 1
		.amdhsa_reserve_flat_scratch 0
		.amdhsa_float_round_mode_32 0
		.amdhsa_float_round_mode_16_64 0
		.amdhsa_float_denorm_mode_32 3
		.amdhsa_float_denorm_mode_16_64 3
		.amdhsa_dx10_clamp 1
		.amdhsa_ieee_mode 1
		.amdhsa_fp16_overflow 0
		.amdhsa_tg_split 0
		.amdhsa_exception_fp_ieee_invalid_op 0
		.amdhsa_exception_fp_denorm_src 0
		.amdhsa_exception_fp_ieee_div_zero 0
		.amdhsa_exception_fp_ieee_overflow 0
		.amdhsa_exception_fp_ieee_underflow 0
		.amdhsa_exception_fp_ieee_inexact 0
		.amdhsa_exception_int_div_zero 0
	.end_amdhsa_kernel
	.section	.text._Z18warp_reduce_kernelIfLj64ELj8EENSt9enable_ifIXsr10test_utilsE35device_test_enabled_for_warp_size_vIXT1_EEEvE4typeEPT_S4_,"axG",@progbits,_Z18warp_reduce_kernelIfLj64ELj8EENSt9enable_ifIXsr10test_utilsE35device_test_enabled_for_warp_size_vIXT1_EEEvE4typeEPT_S4_,comdat
.Lfunc_end46:
	.size	_Z18warp_reduce_kernelIfLj64ELj8EENSt9enable_ifIXsr10test_utilsE35device_test_enabled_for_warp_size_vIXT1_EEEvE4typeEPT_S4_, .Lfunc_end46-_Z18warp_reduce_kernelIfLj64ELj8EENSt9enable_ifIXsr10test_utilsE35device_test_enabled_for_warp_size_vIXT1_EEEvE4typeEPT_S4_
                                        ; -- End function
	.section	.AMDGPU.csdata,"",@progbits
; Kernel info:
; codeLenInByte = 240
; NumSgprs: 12
; NumVgprs: 7
; NumAgprs: 0
; TotalNumVgprs: 7
; ScratchSize: 0
; MemoryBound: 0
; FloatMode: 240
; IeeeMode: 1
; LDSByteSize: 0 bytes/workgroup (compile time only)
; SGPRBlocks: 1
; VGPRBlocks: 0
; NumSGPRsForWavesPerEU: 12
; NumVGPRsForWavesPerEU: 7
; AccumOffset: 8
; Occupancy: 8
; WaveLimiterHint : 0
; COMPUTE_PGM_RSRC2:SCRATCH_EN: 0
; COMPUTE_PGM_RSRC2:USER_SGPR: 6
; COMPUTE_PGM_RSRC2:TRAP_HANDLER: 0
; COMPUTE_PGM_RSRC2:TGID_X_EN: 1
; COMPUTE_PGM_RSRC2:TGID_Y_EN: 0
; COMPUTE_PGM_RSRC2:TGID_Z_EN: 0
; COMPUTE_PGM_RSRC2:TIDIG_COMP_CNT: 0
; COMPUTE_PGM_RSRC3_GFX90A:ACCUM_OFFSET: 1
; COMPUTE_PGM_RSRC3_GFX90A:TG_SPLIT: 0
	.section	.text._Z18warp_reduce_kernelIfLj32ELj4EENSt9enable_ifIXsr10test_utilsE35device_test_enabled_for_warp_size_vIXT1_EEEvE4typeEPT_S4_,"axG",@progbits,_Z18warp_reduce_kernelIfLj32ELj4EENSt9enable_ifIXsr10test_utilsE35device_test_enabled_for_warp_size_vIXT1_EEEvE4typeEPT_S4_,comdat
	.protected	_Z18warp_reduce_kernelIfLj32ELj4EENSt9enable_ifIXsr10test_utilsE35device_test_enabled_for_warp_size_vIXT1_EEEvE4typeEPT_S4_ ; -- Begin function _Z18warp_reduce_kernelIfLj32ELj4EENSt9enable_ifIXsr10test_utilsE35device_test_enabled_for_warp_size_vIXT1_EEEvE4typeEPT_S4_
	.globl	_Z18warp_reduce_kernelIfLj32ELj4EENSt9enable_ifIXsr10test_utilsE35device_test_enabled_for_warp_size_vIXT1_EEEvE4typeEPT_S4_
	.p2align	8
	.type	_Z18warp_reduce_kernelIfLj32ELj4EENSt9enable_ifIXsr10test_utilsE35device_test_enabled_for_warp_size_vIXT1_EEEvE4typeEPT_S4_,@function
_Z18warp_reduce_kernelIfLj32ELj4EENSt9enable_ifIXsr10test_utilsE35device_test_enabled_for_warp_size_vIXT1_EEEvE4typeEPT_S4_: ; @_Z18warp_reduce_kernelIfLj32ELj4EENSt9enable_ifIXsr10test_utilsE35device_test_enabled_for_warp_size_vIXT1_EEEvE4typeEPT_S4_
; %bb.0:
	s_load_dword s7, s[4:5], 0x1c
	s_load_dwordx4 s[0:3], s[4:5], 0x0
	v_mov_b32_e32 v3, 0
	s_waitcnt lgkmcnt(0)
	s_and_b32 s4, s7, 0xffff
	s_mul_i32 s6, s6, s4
	v_add_u32_e32 v2, s6, v0
	v_lshlrev_b64 v[4:5], 2, v[2:3]
	v_mov_b32_e32 v1, s1
	v_add_co_u32_e32 v4, vcc, s0, v4
	v_addc_co_u32_e32 v5, vcc, v1, v5, vcc
	global_load_dword v1, v[4:5], off
	v_mbcnt_lo_u32_b32 v3, -1, 0
	v_mbcnt_hi_u32_b32 v3, -1, v3
	v_and_b32_e32 v4, 3, v3
	v_cmp_ne_u32_e32 vcc, 3, v4
	v_addc_co_u32_e32 v5, vcc, 0, v3, vcc
	v_lshlrev_b32_e32 v5, 2, v5
	v_cmp_gt_u32_e32 vcc, 2, v4
	v_cndmask_b32_e64 v4, 0, 1, vcc
	v_lshlrev_b32_e32 v4, 1, v4
	v_add_lshl_u32 v3, v4, v3, 2
	v_and_b32_e32 v0, 3, v0
	v_cmp_eq_u32_e32 vcc, 0, v0
	s_waitcnt vmcnt(0)
	ds_bpermute_b32 v5, v5, v1
	s_waitcnt lgkmcnt(0)
	v_add_f32_e32 v1, v1, v5
	ds_bpermute_b32 v3, v3, v1
	s_and_saveexec_b64 s[0:1], vcc
	s_cbranch_execz .LBB47_2
; %bb.1:
	v_and_b32_e32 v0, -4, v2
	s_waitcnt lgkmcnt(0)
	v_add_f32_e32 v1, v1, v3
	global_store_dword v0, v1, s[2:3]
.LBB47_2:
	s_endpgm
	.section	.rodata,"a",@progbits
	.p2align	6, 0x0
	.amdhsa_kernel _Z18warp_reduce_kernelIfLj32ELj4EENSt9enable_ifIXsr10test_utilsE35device_test_enabled_for_warp_size_vIXT1_EEEvE4typeEPT_S4_
		.amdhsa_group_segment_fixed_size 0
		.amdhsa_private_segment_fixed_size 0
		.amdhsa_kernarg_size 272
		.amdhsa_user_sgpr_count 6
		.amdhsa_user_sgpr_private_segment_buffer 1
		.amdhsa_user_sgpr_dispatch_ptr 0
		.amdhsa_user_sgpr_queue_ptr 0
		.amdhsa_user_sgpr_kernarg_segment_ptr 1
		.amdhsa_user_sgpr_dispatch_id 0
		.amdhsa_user_sgpr_flat_scratch_init 0
		.amdhsa_user_sgpr_kernarg_preload_length 0
		.amdhsa_user_sgpr_kernarg_preload_offset 0
		.amdhsa_user_sgpr_private_segment_size 0
		.amdhsa_uses_dynamic_stack 0
		.amdhsa_system_sgpr_private_segment_wavefront_offset 0
		.amdhsa_system_sgpr_workgroup_id_x 1
		.amdhsa_system_sgpr_workgroup_id_y 0
		.amdhsa_system_sgpr_workgroup_id_z 0
		.amdhsa_system_sgpr_workgroup_info 0
		.amdhsa_system_vgpr_workitem_id 0
		.amdhsa_next_free_vgpr 6
		.amdhsa_next_free_sgpr 8
		.amdhsa_accum_offset 8
		.amdhsa_reserve_vcc 1
		.amdhsa_reserve_flat_scratch 0
		.amdhsa_float_round_mode_32 0
		.amdhsa_float_round_mode_16_64 0
		.amdhsa_float_denorm_mode_32 3
		.amdhsa_float_denorm_mode_16_64 3
		.amdhsa_dx10_clamp 1
		.amdhsa_ieee_mode 1
		.amdhsa_fp16_overflow 0
		.amdhsa_tg_split 0
		.amdhsa_exception_fp_ieee_invalid_op 0
		.amdhsa_exception_fp_denorm_src 0
		.amdhsa_exception_fp_ieee_div_zero 0
		.amdhsa_exception_fp_ieee_overflow 0
		.amdhsa_exception_fp_ieee_underflow 0
		.amdhsa_exception_fp_ieee_inexact 0
		.amdhsa_exception_int_div_zero 0
	.end_amdhsa_kernel
	.section	.text._Z18warp_reduce_kernelIfLj32ELj4EENSt9enable_ifIXsr10test_utilsE35device_test_enabled_for_warp_size_vIXT1_EEEvE4typeEPT_S4_,"axG",@progbits,_Z18warp_reduce_kernelIfLj32ELj4EENSt9enable_ifIXsr10test_utilsE35device_test_enabled_for_warp_size_vIXT1_EEEvE4typeEPT_S4_,comdat
.Lfunc_end47:
	.size	_Z18warp_reduce_kernelIfLj32ELj4EENSt9enable_ifIXsr10test_utilsE35device_test_enabled_for_warp_size_vIXT1_EEEvE4typeEPT_S4_, .Lfunc_end47-_Z18warp_reduce_kernelIfLj32ELj4EENSt9enable_ifIXsr10test_utilsE35device_test_enabled_for_warp_size_vIXT1_EEEvE4typeEPT_S4_
                                        ; -- End function
	.section	.AMDGPU.csdata,"",@progbits
; Kernel info:
; codeLenInByte = 192
; NumSgprs: 12
; NumVgprs: 6
; NumAgprs: 0
; TotalNumVgprs: 6
; ScratchSize: 0
; MemoryBound: 0
; FloatMode: 240
; IeeeMode: 1
; LDSByteSize: 0 bytes/workgroup (compile time only)
; SGPRBlocks: 1
; VGPRBlocks: 0
; NumSGPRsForWavesPerEU: 12
; NumVGPRsForWavesPerEU: 6
; AccumOffset: 8
; Occupancy: 8
; WaveLimiterHint : 0
; COMPUTE_PGM_RSRC2:SCRATCH_EN: 0
; COMPUTE_PGM_RSRC2:USER_SGPR: 6
; COMPUTE_PGM_RSRC2:TRAP_HANDLER: 0
; COMPUTE_PGM_RSRC2:TGID_X_EN: 1
; COMPUTE_PGM_RSRC2:TGID_Y_EN: 0
; COMPUTE_PGM_RSRC2:TGID_Z_EN: 0
; COMPUTE_PGM_RSRC2:TIDIG_COMP_CNT: 0
; COMPUTE_PGM_RSRC3_GFX90A:ACCUM_OFFSET: 1
; COMPUTE_PGM_RSRC3_GFX90A:TG_SPLIT: 0
	.section	.text._Z18warp_reduce_kernelIfLj64ELj4EENSt9enable_ifIXsr10test_utilsE35device_test_enabled_for_warp_size_vIXT1_EEEvE4typeEPT_S4_,"axG",@progbits,_Z18warp_reduce_kernelIfLj64ELj4EENSt9enable_ifIXsr10test_utilsE35device_test_enabled_for_warp_size_vIXT1_EEEvE4typeEPT_S4_,comdat
	.protected	_Z18warp_reduce_kernelIfLj64ELj4EENSt9enable_ifIXsr10test_utilsE35device_test_enabled_for_warp_size_vIXT1_EEEvE4typeEPT_S4_ ; -- Begin function _Z18warp_reduce_kernelIfLj64ELj4EENSt9enable_ifIXsr10test_utilsE35device_test_enabled_for_warp_size_vIXT1_EEEvE4typeEPT_S4_
	.globl	_Z18warp_reduce_kernelIfLj64ELj4EENSt9enable_ifIXsr10test_utilsE35device_test_enabled_for_warp_size_vIXT1_EEEvE4typeEPT_S4_
	.p2align	8
	.type	_Z18warp_reduce_kernelIfLj64ELj4EENSt9enable_ifIXsr10test_utilsE35device_test_enabled_for_warp_size_vIXT1_EEEvE4typeEPT_S4_,@function
_Z18warp_reduce_kernelIfLj64ELj4EENSt9enable_ifIXsr10test_utilsE35device_test_enabled_for_warp_size_vIXT1_EEEvE4typeEPT_S4_: ; @_Z18warp_reduce_kernelIfLj64ELj4EENSt9enable_ifIXsr10test_utilsE35device_test_enabled_for_warp_size_vIXT1_EEEvE4typeEPT_S4_
; %bb.0:
	s_load_dword s7, s[4:5], 0x1c
	s_load_dwordx4 s[0:3], s[4:5], 0x0
	v_mov_b32_e32 v3, 0
	s_waitcnt lgkmcnt(0)
	s_and_b32 s4, s7, 0xffff
	s_mul_i32 s6, s6, s4
	v_add_u32_e32 v2, s6, v0
	v_lshlrev_b64 v[4:5], 2, v[2:3]
	v_mov_b32_e32 v1, s1
	v_add_co_u32_e32 v4, vcc, s0, v4
	v_addc_co_u32_e32 v5, vcc, v1, v5, vcc
	global_load_dword v1, v[4:5], off
	v_mbcnt_lo_u32_b32 v3, -1, 0
	v_mbcnt_hi_u32_b32 v3, -1, v3
	v_and_b32_e32 v4, 3, v3
	v_cmp_ne_u32_e32 vcc, 3, v4
	v_addc_co_u32_e32 v5, vcc, 0, v3, vcc
	v_lshlrev_b32_e32 v5, 2, v5
	v_cmp_gt_u32_e32 vcc, 2, v4
	v_cndmask_b32_e64 v4, 0, 1, vcc
	v_lshlrev_b32_e32 v4, 1, v4
	v_add_lshl_u32 v3, v4, v3, 2
	v_and_b32_e32 v0, 3, v0
	v_cmp_eq_u32_e32 vcc, 0, v0
	s_waitcnt vmcnt(0)
	ds_bpermute_b32 v5, v5, v1
	s_waitcnt lgkmcnt(0)
	v_add_f32_e32 v1, v1, v5
	ds_bpermute_b32 v3, v3, v1
	s_and_saveexec_b64 s[0:1], vcc
	s_cbranch_execz .LBB48_2
; %bb.1:
	v_and_b32_e32 v0, -4, v2
	s_waitcnt lgkmcnt(0)
	v_add_f32_e32 v1, v1, v3
	global_store_dword v0, v1, s[2:3]
.LBB48_2:
	s_endpgm
	.section	.rodata,"a",@progbits
	.p2align	6, 0x0
	.amdhsa_kernel _Z18warp_reduce_kernelIfLj64ELj4EENSt9enable_ifIXsr10test_utilsE35device_test_enabled_for_warp_size_vIXT1_EEEvE4typeEPT_S4_
		.amdhsa_group_segment_fixed_size 0
		.amdhsa_private_segment_fixed_size 0
		.amdhsa_kernarg_size 272
		.amdhsa_user_sgpr_count 6
		.amdhsa_user_sgpr_private_segment_buffer 1
		.amdhsa_user_sgpr_dispatch_ptr 0
		.amdhsa_user_sgpr_queue_ptr 0
		.amdhsa_user_sgpr_kernarg_segment_ptr 1
		.amdhsa_user_sgpr_dispatch_id 0
		.amdhsa_user_sgpr_flat_scratch_init 0
		.amdhsa_user_sgpr_kernarg_preload_length 0
		.amdhsa_user_sgpr_kernarg_preload_offset 0
		.amdhsa_user_sgpr_private_segment_size 0
		.amdhsa_uses_dynamic_stack 0
		.amdhsa_system_sgpr_private_segment_wavefront_offset 0
		.amdhsa_system_sgpr_workgroup_id_x 1
		.amdhsa_system_sgpr_workgroup_id_y 0
		.amdhsa_system_sgpr_workgroup_id_z 0
		.amdhsa_system_sgpr_workgroup_info 0
		.amdhsa_system_vgpr_workitem_id 0
		.amdhsa_next_free_vgpr 6
		.amdhsa_next_free_sgpr 8
		.amdhsa_accum_offset 8
		.amdhsa_reserve_vcc 1
		.amdhsa_reserve_flat_scratch 0
		.amdhsa_float_round_mode_32 0
		.amdhsa_float_round_mode_16_64 0
		.amdhsa_float_denorm_mode_32 3
		.amdhsa_float_denorm_mode_16_64 3
		.amdhsa_dx10_clamp 1
		.amdhsa_ieee_mode 1
		.amdhsa_fp16_overflow 0
		.amdhsa_tg_split 0
		.amdhsa_exception_fp_ieee_invalid_op 0
		.amdhsa_exception_fp_denorm_src 0
		.amdhsa_exception_fp_ieee_div_zero 0
		.amdhsa_exception_fp_ieee_overflow 0
		.amdhsa_exception_fp_ieee_underflow 0
		.amdhsa_exception_fp_ieee_inexact 0
		.amdhsa_exception_int_div_zero 0
	.end_amdhsa_kernel
	.section	.text._Z18warp_reduce_kernelIfLj64ELj4EENSt9enable_ifIXsr10test_utilsE35device_test_enabled_for_warp_size_vIXT1_EEEvE4typeEPT_S4_,"axG",@progbits,_Z18warp_reduce_kernelIfLj64ELj4EENSt9enable_ifIXsr10test_utilsE35device_test_enabled_for_warp_size_vIXT1_EEEvE4typeEPT_S4_,comdat
.Lfunc_end48:
	.size	_Z18warp_reduce_kernelIfLj64ELj4EENSt9enable_ifIXsr10test_utilsE35device_test_enabled_for_warp_size_vIXT1_EEEvE4typeEPT_S4_, .Lfunc_end48-_Z18warp_reduce_kernelIfLj64ELj4EENSt9enable_ifIXsr10test_utilsE35device_test_enabled_for_warp_size_vIXT1_EEEvE4typeEPT_S4_
                                        ; -- End function
	.section	.AMDGPU.csdata,"",@progbits
; Kernel info:
; codeLenInByte = 192
; NumSgprs: 12
; NumVgprs: 6
; NumAgprs: 0
; TotalNumVgprs: 6
; ScratchSize: 0
; MemoryBound: 0
; FloatMode: 240
; IeeeMode: 1
; LDSByteSize: 0 bytes/workgroup (compile time only)
; SGPRBlocks: 1
; VGPRBlocks: 0
; NumSGPRsForWavesPerEU: 12
; NumVGPRsForWavesPerEU: 6
; AccumOffset: 8
; Occupancy: 8
; WaveLimiterHint : 0
; COMPUTE_PGM_RSRC2:SCRATCH_EN: 0
; COMPUTE_PGM_RSRC2:USER_SGPR: 6
; COMPUTE_PGM_RSRC2:TRAP_HANDLER: 0
; COMPUTE_PGM_RSRC2:TGID_X_EN: 1
; COMPUTE_PGM_RSRC2:TGID_Y_EN: 0
; COMPUTE_PGM_RSRC2:TGID_Z_EN: 0
; COMPUTE_PGM_RSRC2:TIDIG_COMP_CNT: 0
; COMPUTE_PGM_RSRC3_GFX90A:ACCUM_OFFSET: 1
; COMPUTE_PGM_RSRC3_GFX90A:TG_SPLIT: 0
	.section	.text._Z18warp_reduce_kernelIfLj32ELj2EENSt9enable_ifIXsr10test_utilsE35device_test_enabled_for_warp_size_vIXT1_EEEvE4typeEPT_S4_,"axG",@progbits,_Z18warp_reduce_kernelIfLj32ELj2EENSt9enable_ifIXsr10test_utilsE35device_test_enabled_for_warp_size_vIXT1_EEEvE4typeEPT_S4_,comdat
	.protected	_Z18warp_reduce_kernelIfLj32ELj2EENSt9enable_ifIXsr10test_utilsE35device_test_enabled_for_warp_size_vIXT1_EEEvE4typeEPT_S4_ ; -- Begin function _Z18warp_reduce_kernelIfLj32ELj2EENSt9enable_ifIXsr10test_utilsE35device_test_enabled_for_warp_size_vIXT1_EEEvE4typeEPT_S4_
	.globl	_Z18warp_reduce_kernelIfLj32ELj2EENSt9enable_ifIXsr10test_utilsE35device_test_enabled_for_warp_size_vIXT1_EEEvE4typeEPT_S4_
	.p2align	8
	.type	_Z18warp_reduce_kernelIfLj32ELj2EENSt9enable_ifIXsr10test_utilsE35device_test_enabled_for_warp_size_vIXT1_EEEvE4typeEPT_S4_,@function
_Z18warp_reduce_kernelIfLj32ELj2EENSt9enable_ifIXsr10test_utilsE35device_test_enabled_for_warp_size_vIXT1_EEEvE4typeEPT_S4_: ; @_Z18warp_reduce_kernelIfLj32ELj2EENSt9enable_ifIXsr10test_utilsE35device_test_enabled_for_warp_size_vIXT1_EEEvE4typeEPT_S4_
; %bb.0:
	s_load_dword s7, s[4:5], 0x1c
	s_load_dwordx4 s[0:3], s[4:5], 0x0
	v_mov_b32_e32 v3, 0
	s_waitcnt lgkmcnt(0)
	s_and_b32 s4, s7, 0xffff
	s_mul_i32 s6, s6, s4
	v_add_u32_e32 v2, s6, v0
	v_lshlrev_b64 v[4:5], 2, v[2:3]
	v_mov_b32_e32 v1, s1
	v_add_co_u32_e32 v4, vcc, s0, v4
	v_addc_co_u32_e32 v5, vcc, v1, v5, vcc
	global_load_dword v1, v[4:5], off
	v_mbcnt_lo_u32_b32 v4, -1, 0
	v_mbcnt_hi_u32_b32 v4, -1, v4
	v_lshl_or_b32 v4, v4, 2, 4
	v_and_b32_e32 v0, 1, v0
	v_cmp_eq_u32_e32 vcc, 0, v0
	s_waitcnt vmcnt(0)
	ds_bpermute_b32 v4, v4, v1
	s_and_saveexec_b64 s[0:1], vcc
	s_cbranch_execz .LBB49_2
; %bb.1:
	v_lshrrev_b32_e32 v2, 1, v2
	v_lshlrev_b64 v[2:3], 2, v[2:3]
	v_mov_b32_e32 v0, s3
	v_add_co_u32_e32 v2, vcc, s2, v2
	v_addc_co_u32_e32 v3, vcc, v0, v3, vcc
	s_waitcnt lgkmcnt(0)
	v_add_f32_e32 v0, v1, v4
	global_store_dword v[2:3], v0, off
.LBB49_2:
	s_endpgm
	.section	.rodata,"a",@progbits
	.p2align	6, 0x0
	.amdhsa_kernel _Z18warp_reduce_kernelIfLj32ELj2EENSt9enable_ifIXsr10test_utilsE35device_test_enabled_for_warp_size_vIXT1_EEEvE4typeEPT_S4_
		.amdhsa_group_segment_fixed_size 0
		.amdhsa_private_segment_fixed_size 0
		.amdhsa_kernarg_size 272
		.amdhsa_user_sgpr_count 6
		.amdhsa_user_sgpr_private_segment_buffer 1
		.amdhsa_user_sgpr_dispatch_ptr 0
		.amdhsa_user_sgpr_queue_ptr 0
		.amdhsa_user_sgpr_kernarg_segment_ptr 1
		.amdhsa_user_sgpr_dispatch_id 0
		.amdhsa_user_sgpr_flat_scratch_init 0
		.amdhsa_user_sgpr_kernarg_preload_length 0
		.amdhsa_user_sgpr_kernarg_preload_offset 0
		.amdhsa_user_sgpr_private_segment_size 0
		.amdhsa_uses_dynamic_stack 0
		.amdhsa_system_sgpr_private_segment_wavefront_offset 0
		.amdhsa_system_sgpr_workgroup_id_x 1
		.amdhsa_system_sgpr_workgroup_id_y 0
		.amdhsa_system_sgpr_workgroup_id_z 0
		.amdhsa_system_sgpr_workgroup_info 0
		.amdhsa_system_vgpr_workitem_id 0
		.amdhsa_next_free_vgpr 6
		.amdhsa_next_free_sgpr 8
		.amdhsa_accum_offset 8
		.amdhsa_reserve_vcc 1
		.amdhsa_reserve_flat_scratch 0
		.amdhsa_float_round_mode_32 0
		.amdhsa_float_round_mode_16_64 0
		.amdhsa_float_denorm_mode_32 3
		.amdhsa_float_denorm_mode_16_64 3
		.amdhsa_dx10_clamp 1
		.amdhsa_ieee_mode 1
		.amdhsa_fp16_overflow 0
		.amdhsa_tg_split 0
		.amdhsa_exception_fp_ieee_invalid_op 0
		.amdhsa_exception_fp_denorm_src 0
		.amdhsa_exception_fp_ieee_div_zero 0
		.amdhsa_exception_fp_ieee_overflow 0
		.amdhsa_exception_fp_ieee_underflow 0
		.amdhsa_exception_fp_ieee_inexact 0
		.amdhsa_exception_int_div_zero 0
	.end_amdhsa_kernel
	.section	.text._Z18warp_reduce_kernelIfLj32ELj2EENSt9enable_ifIXsr10test_utilsE35device_test_enabled_for_warp_size_vIXT1_EEEvE4typeEPT_S4_,"axG",@progbits,_Z18warp_reduce_kernelIfLj32ELj2EENSt9enable_ifIXsr10test_utilsE35device_test_enabled_for_warp_size_vIXT1_EEEvE4typeEPT_S4_,comdat
.Lfunc_end49:
	.size	_Z18warp_reduce_kernelIfLj32ELj2EENSt9enable_ifIXsr10test_utilsE35device_test_enabled_for_warp_size_vIXT1_EEEvE4typeEPT_S4_, .Lfunc_end49-_Z18warp_reduce_kernelIfLj32ELj2EENSt9enable_ifIXsr10test_utilsE35device_test_enabled_for_warp_size_vIXT1_EEEvE4typeEPT_S4_
                                        ; -- End function
	.section	.AMDGPU.csdata,"",@progbits
; Kernel info:
; codeLenInByte = 164
; NumSgprs: 12
; NumVgprs: 6
; NumAgprs: 0
; TotalNumVgprs: 6
; ScratchSize: 0
; MemoryBound: 0
; FloatMode: 240
; IeeeMode: 1
; LDSByteSize: 0 bytes/workgroup (compile time only)
; SGPRBlocks: 1
; VGPRBlocks: 0
; NumSGPRsForWavesPerEU: 12
; NumVGPRsForWavesPerEU: 6
; AccumOffset: 8
; Occupancy: 8
; WaveLimiterHint : 0
; COMPUTE_PGM_RSRC2:SCRATCH_EN: 0
; COMPUTE_PGM_RSRC2:USER_SGPR: 6
; COMPUTE_PGM_RSRC2:TRAP_HANDLER: 0
; COMPUTE_PGM_RSRC2:TGID_X_EN: 1
; COMPUTE_PGM_RSRC2:TGID_Y_EN: 0
; COMPUTE_PGM_RSRC2:TGID_Z_EN: 0
; COMPUTE_PGM_RSRC2:TIDIG_COMP_CNT: 0
; COMPUTE_PGM_RSRC3_GFX90A:ACCUM_OFFSET: 1
; COMPUTE_PGM_RSRC3_GFX90A:TG_SPLIT: 0
	.section	.text._Z18warp_reduce_kernelIfLj64ELj2EENSt9enable_ifIXsr10test_utilsE35device_test_enabled_for_warp_size_vIXT1_EEEvE4typeEPT_S4_,"axG",@progbits,_Z18warp_reduce_kernelIfLj64ELj2EENSt9enable_ifIXsr10test_utilsE35device_test_enabled_for_warp_size_vIXT1_EEEvE4typeEPT_S4_,comdat
	.protected	_Z18warp_reduce_kernelIfLj64ELj2EENSt9enable_ifIXsr10test_utilsE35device_test_enabled_for_warp_size_vIXT1_EEEvE4typeEPT_S4_ ; -- Begin function _Z18warp_reduce_kernelIfLj64ELj2EENSt9enable_ifIXsr10test_utilsE35device_test_enabled_for_warp_size_vIXT1_EEEvE4typeEPT_S4_
	.globl	_Z18warp_reduce_kernelIfLj64ELj2EENSt9enable_ifIXsr10test_utilsE35device_test_enabled_for_warp_size_vIXT1_EEEvE4typeEPT_S4_
	.p2align	8
	.type	_Z18warp_reduce_kernelIfLj64ELj2EENSt9enable_ifIXsr10test_utilsE35device_test_enabled_for_warp_size_vIXT1_EEEvE4typeEPT_S4_,@function
_Z18warp_reduce_kernelIfLj64ELj2EENSt9enable_ifIXsr10test_utilsE35device_test_enabled_for_warp_size_vIXT1_EEEvE4typeEPT_S4_: ; @_Z18warp_reduce_kernelIfLj64ELj2EENSt9enable_ifIXsr10test_utilsE35device_test_enabled_for_warp_size_vIXT1_EEEvE4typeEPT_S4_
; %bb.0:
	s_load_dword s7, s[4:5], 0x1c
	s_load_dwordx4 s[0:3], s[4:5], 0x0
	v_mov_b32_e32 v3, 0
	s_waitcnt lgkmcnt(0)
	s_and_b32 s4, s7, 0xffff
	s_mul_i32 s6, s6, s4
	v_add_u32_e32 v2, s6, v0
	v_lshlrev_b64 v[4:5], 2, v[2:3]
	v_mov_b32_e32 v1, s1
	v_add_co_u32_e32 v4, vcc, s0, v4
	v_addc_co_u32_e32 v5, vcc, v1, v5, vcc
	global_load_dword v1, v[4:5], off
	v_mbcnt_lo_u32_b32 v4, -1, 0
	v_mbcnt_hi_u32_b32 v4, -1, v4
	v_lshl_or_b32 v4, v4, 2, 4
	v_and_b32_e32 v0, 1, v0
	v_cmp_eq_u32_e32 vcc, 0, v0
	s_waitcnt vmcnt(0)
	ds_bpermute_b32 v4, v4, v1
	s_and_saveexec_b64 s[0:1], vcc
	s_cbranch_execz .LBB50_2
; %bb.1:
	v_lshrrev_b32_e32 v2, 1, v2
	v_lshlrev_b64 v[2:3], 2, v[2:3]
	v_mov_b32_e32 v0, s3
	v_add_co_u32_e32 v2, vcc, s2, v2
	v_addc_co_u32_e32 v3, vcc, v0, v3, vcc
	s_waitcnt lgkmcnt(0)
	v_add_f32_e32 v0, v1, v4
	global_store_dword v[2:3], v0, off
.LBB50_2:
	s_endpgm
	.section	.rodata,"a",@progbits
	.p2align	6, 0x0
	.amdhsa_kernel _Z18warp_reduce_kernelIfLj64ELj2EENSt9enable_ifIXsr10test_utilsE35device_test_enabled_for_warp_size_vIXT1_EEEvE4typeEPT_S4_
		.amdhsa_group_segment_fixed_size 0
		.amdhsa_private_segment_fixed_size 0
		.amdhsa_kernarg_size 272
		.amdhsa_user_sgpr_count 6
		.amdhsa_user_sgpr_private_segment_buffer 1
		.amdhsa_user_sgpr_dispatch_ptr 0
		.amdhsa_user_sgpr_queue_ptr 0
		.amdhsa_user_sgpr_kernarg_segment_ptr 1
		.amdhsa_user_sgpr_dispatch_id 0
		.amdhsa_user_sgpr_flat_scratch_init 0
		.amdhsa_user_sgpr_kernarg_preload_length 0
		.amdhsa_user_sgpr_kernarg_preload_offset 0
		.amdhsa_user_sgpr_private_segment_size 0
		.amdhsa_uses_dynamic_stack 0
		.amdhsa_system_sgpr_private_segment_wavefront_offset 0
		.amdhsa_system_sgpr_workgroup_id_x 1
		.amdhsa_system_sgpr_workgroup_id_y 0
		.amdhsa_system_sgpr_workgroup_id_z 0
		.amdhsa_system_sgpr_workgroup_info 0
		.amdhsa_system_vgpr_workitem_id 0
		.amdhsa_next_free_vgpr 6
		.amdhsa_next_free_sgpr 8
		.amdhsa_accum_offset 8
		.amdhsa_reserve_vcc 1
		.amdhsa_reserve_flat_scratch 0
		.amdhsa_float_round_mode_32 0
		.amdhsa_float_round_mode_16_64 0
		.amdhsa_float_denorm_mode_32 3
		.amdhsa_float_denorm_mode_16_64 3
		.amdhsa_dx10_clamp 1
		.amdhsa_ieee_mode 1
		.amdhsa_fp16_overflow 0
		.amdhsa_tg_split 0
		.amdhsa_exception_fp_ieee_invalid_op 0
		.amdhsa_exception_fp_denorm_src 0
		.amdhsa_exception_fp_ieee_div_zero 0
		.amdhsa_exception_fp_ieee_overflow 0
		.amdhsa_exception_fp_ieee_underflow 0
		.amdhsa_exception_fp_ieee_inexact 0
		.amdhsa_exception_int_div_zero 0
	.end_amdhsa_kernel
	.section	.text._Z18warp_reduce_kernelIfLj64ELj2EENSt9enable_ifIXsr10test_utilsE35device_test_enabled_for_warp_size_vIXT1_EEEvE4typeEPT_S4_,"axG",@progbits,_Z18warp_reduce_kernelIfLj64ELj2EENSt9enable_ifIXsr10test_utilsE35device_test_enabled_for_warp_size_vIXT1_EEEvE4typeEPT_S4_,comdat
.Lfunc_end50:
	.size	_Z18warp_reduce_kernelIfLj64ELj2EENSt9enable_ifIXsr10test_utilsE35device_test_enabled_for_warp_size_vIXT1_EEEvE4typeEPT_S4_, .Lfunc_end50-_Z18warp_reduce_kernelIfLj64ELj2EENSt9enable_ifIXsr10test_utilsE35device_test_enabled_for_warp_size_vIXT1_EEEvE4typeEPT_S4_
                                        ; -- End function
	.section	.AMDGPU.csdata,"",@progbits
; Kernel info:
; codeLenInByte = 164
; NumSgprs: 12
; NumVgprs: 6
; NumAgprs: 0
; TotalNumVgprs: 6
; ScratchSize: 0
; MemoryBound: 0
; FloatMode: 240
; IeeeMode: 1
; LDSByteSize: 0 bytes/workgroup (compile time only)
; SGPRBlocks: 1
; VGPRBlocks: 0
; NumSGPRsForWavesPerEU: 12
; NumVGPRsForWavesPerEU: 6
; AccumOffset: 8
; Occupancy: 8
; WaveLimiterHint : 0
; COMPUTE_PGM_RSRC2:SCRATCH_EN: 0
; COMPUTE_PGM_RSRC2:USER_SGPR: 6
; COMPUTE_PGM_RSRC2:TRAP_HANDLER: 0
; COMPUTE_PGM_RSRC2:TGID_X_EN: 1
; COMPUTE_PGM_RSRC2:TGID_Y_EN: 0
; COMPUTE_PGM_RSRC2:TGID_Z_EN: 0
; COMPUTE_PGM_RSRC2:TIDIG_COMP_CNT: 0
; COMPUTE_PGM_RSRC3_GFX90A:ACCUM_OFFSET: 1
; COMPUTE_PGM_RSRC3_GFX90A:TG_SPLIT: 0
	.section	.text._Z18warp_reduce_kernelIfLj32ELj1EENSt9enable_ifIXsr10test_utilsE35device_test_enabled_for_warp_size_vIXT1_EEEvE4typeEPT_S4_,"axG",@progbits,_Z18warp_reduce_kernelIfLj32ELj1EENSt9enable_ifIXsr10test_utilsE35device_test_enabled_for_warp_size_vIXT1_EEEvE4typeEPT_S4_,comdat
	.protected	_Z18warp_reduce_kernelIfLj32ELj1EENSt9enable_ifIXsr10test_utilsE35device_test_enabled_for_warp_size_vIXT1_EEEvE4typeEPT_S4_ ; -- Begin function _Z18warp_reduce_kernelIfLj32ELj1EENSt9enable_ifIXsr10test_utilsE35device_test_enabled_for_warp_size_vIXT1_EEEvE4typeEPT_S4_
	.globl	_Z18warp_reduce_kernelIfLj32ELj1EENSt9enable_ifIXsr10test_utilsE35device_test_enabled_for_warp_size_vIXT1_EEEvE4typeEPT_S4_
	.p2align	8
	.type	_Z18warp_reduce_kernelIfLj32ELj1EENSt9enable_ifIXsr10test_utilsE35device_test_enabled_for_warp_size_vIXT1_EEEvE4typeEPT_S4_,@function
_Z18warp_reduce_kernelIfLj32ELj1EENSt9enable_ifIXsr10test_utilsE35device_test_enabled_for_warp_size_vIXT1_EEEvE4typeEPT_S4_: ; @_Z18warp_reduce_kernelIfLj32ELj1EENSt9enable_ifIXsr10test_utilsE35device_test_enabled_for_warp_size_vIXT1_EEEvE4typeEPT_S4_
; %bb.0:
	s_load_dword s7, s[4:5], 0x1c
	s_load_dwordx4 s[0:3], s[4:5], 0x0
	v_mov_b32_e32 v1, 0
	s_waitcnt lgkmcnt(0)
	s_and_b32 s4, s7, 0xffff
	s_mul_i32 s6, s6, s4
	v_add_u32_e32 v0, s6, v0
	v_lshlrev_b64 v[0:1], 2, v[0:1]
	v_mov_b32_e32 v3, s1
	v_add_co_u32_e32 v2, vcc, s0, v0
	v_addc_co_u32_e32 v3, vcc, v3, v1, vcc
	global_load_dword v2, v[2:3], off
	v_mov_b32_e32 v3, s3
	v_add_co_u32_e32 v0, vcc, s2, v0
	v_addc_co_u32_e32 v1, vcc, v3, v1, vcc
	s_waitcnt vmcnt(0)
	global_store_dword v[0:1], v2, off
	s_endpgm
	.section	.rodata,"a",@progbits
	.p2align	6, 0x0
	.amdhsa_kernel _Z18warp_reduce_kernelIfLj32ELj1EENSt9enable_ifIXsr10test_utilsE35device_test_enabled_for_warp_size_vIXT1_EEEvE4typeEPT_S4_
		.amdhsa_group_segment_fixed_size 0
		.amdhsa_private_segment_fixed_size 0
		.amdhsa_kernarg_size 272
		.amdhsa_user_sgpr_count 6
		.amdhsa_user_sgpr_private_segment_buffer 1
		.amdhsa_user_sgpr_dispatch_ptr 0
		.amdhsa_user_sgpr_queue_ptr 0
		.amdhsa_user_sgpr_kernarg_segment_ptr 1
		.amdhsa_user_sgpr_dispatch_id 0
		.amdhsa_user_sgpr_flat_scratch_init 0
		.amdhsa_user_sgpr_kernarg_preload_length 0
		.amdhsa_user_sgpr_kernarg_preload_offset 0
		.amdhsa_user_sgpr_private_segment_size 0
		.amdhsa_uses_dynamic_stack 0
		.amdhsa_system_sgpr_private_segment_wavefront_offset 0
		.amdhsa_system_sgpr_workgroup_id_x 1
		.amdhsa_system_sgpr_workgroup_id_y 0
		.amdhsa_system_sgpr_workgroup_id_z 0
		.amdhsa_system_sgpr_workgroup_info 0
		.amdhsa_system_vgpr_workitem_id 0
		.amdhsa_next_free_vgpr 4
		.amdhsa_next_free_sgpr 8
		.amdhsa_accum_offset 4
		.amdhsa_reserve_vcc 1
		.amdhsa_reserve_flat_scratch 0
		.amdhsa_float_round_mode_32 0
		.amdhsa_float_round_mode_16_64 0
		.amdhsa_float_denorm_mode_32 3
		.amdhsa_float_denorm_mode_16_64 3
		.amdhsa_dx10_clamp 1
		.amdhsa_ieee_mode 1
		.amdhsa_fp16_overflow 0
		.amdhsa_tg_split 0
		.amdhsa_exception_fp_ieee_invalid_op 0
		.amdhsa_exception_fp_denorm_src 0
		.amdhsa_exception_fp_ieee_div_zero 0
		.amdhsa_exception_fp_ieee_overflow 0
		.amdhsa_exception_fp_ieee_underflow 0
		.amdhsa_exception_fp_ieee_inexact 0
		.amdhsa_exception_int_div_zero 0
	.end_amdhsa_kernel
	.section	.text._Z18warp_reduce_kernelIfLj32ELj1EENSt9enable_ifIXsr10test_utilsE35device_test_enabled_for_warp_size_vIXT1_EEEvE4typeEPT_S4_,"axG",@progbits,_Z18warp_reduce_kernelIfLj32ELj1EENSt9enable_ifIXsr10test_utilsE35device_test_enabled_for_warp_size_vIXT1_EEEvE4typeEPT_S4_,comdat
.Lfunc_end51:
	.size	_Z18warp_reduce_kernelIfLj32ELj1EENSt9enable_ifIXsr10test_utilsE35device_test_enabled_for_warp_size_vIXT1_EEEvE4typeEPT_S4_, .Lfunc_end51-_Z18warp_reduce_kernelIfLj32ELj1EENSt9enable_ifIXsr10test_utilsE35device_test_enabled_for_warp_size_vIXT1_EEEvE4typeEPT_S4_
                                        ; -- End function
	.section	.AMDGPU.csdata,"",@progbits
; Kernel info:
; codeLenInByte = 96
; NumSgprs: 12
; NumVgprs: 4
; NumAgprs: 0
; TotalNumVgprs: 4
; ScratchSize: 0
; MemoryBound: 0
; FloatMode: 240
; IeeeMode: 1
; LDSByteSize: 0 bytes/workgroup (compile time only)
; SGPRBlocks: 1
; VGPRBlocks: 0
; NumSGPRsForWavesPerEU: 12
; NumVGPRsForWavesPerEU: 4
; AccumOffset: 4
; Occupancy: 8
; WaveLimiterHint : 0
; COMPUTE_PGM_RSRC2:SCRATCH_EN: 0
; COMPUTE_PGM_RSRC2:USER_SGPR: 6
; COMPUTE_PGM_RSRC2:TRAP_HANDLER: 0
; COMPUTE_PGM_RSRC2:TGID_X_EN: 1
; COMPUTE_PGM_RSRC2:TGID_Y_EN: 0
; COMPUTE_PGM_RSRC2:TGID_Z_EN: 0
; COMPUTE_PGM_RSRC2:TIDIG_COMP_CNT: 0
; COMPUTE_PGM_RSRC3_GFX90A:ACCUM_OFFSET: 0
; COMPUTE_PGM_RSRC3_GFX90A:TG_SPLIT: 0
	.section	.text._Z18warp_reduce_kernelIfLj64ELj1EENSt9enable_ifIXsr10test_utilsE35device_test_enabled_for_warp_size_vIXT1_EEEvE4typeEPT_S4_,"axG",@progbits,_Z18warp_reduce_kernelIfLj64ELj1EENSt9enable_ifIXsr10test_utilsE35device_test_enabled_for_warp_size_vIXT1_EEEvE4typeEPT_S4_,comdat
	.protected	_Z18warp_reduce_kernelIfLj64ELj1EENSt9enable_ifIXsr10test_utilsE35device_test_enabled_for_warp_size_vIXT1_EEEvE4typeEPT_S4_ ; -- Begin function _Z18warp_reduce_kernelIfLj64ELj1EENSt9enable_ifIXsr10test_utilsE35device_test_enabled_for_warp_size_vIXT1_EEEvE4typeEPT_S4_
	.globl	_Z18warp_reduce_kernelIfLj64ELj1EENSt9enable_ifIXsr10test_utilsE35device_test_enabled_for_warp_size_vIXT1_EEEvE4typeEPT_S4_
	.p2align	8
	.type	_Z18warp_reduce_kernelIfLj64ELj1EENSt9enable_ifIXsr10test_utilsE35device_test_enabled_for_warp_size_vIXT1_EEEvE4typeEPT_S4_,@function
_Z18warp_reduce_kernelIfLj64ELj1EENSt9enable_ifIXsr10test_utilsE35device_test_enabled_for_warp_size_vIXT1_EEEvE4typeEPT_S4_: ; @_Z18warp_reduce_kernelIfLj64ELj1EENSt9enable_ifIXsr10test_utilsE35device_test_enabled_for_warp_size_vIXT1_EEEvE4typeEPT_S4_
; %bb.0:
	s_load_dword s7, s[4:5], 0x1c
	s_load_dwordx4 s[0:3], s[4:5], 0x0
	v_mov_b32_e32 v1, 0
	s_waitcnt lgkmcnt(0)
	s_and_b32 s4, s7, 0xffff
	s_mul_i32 s6, s6, s4
	v_add_u32_e32 v0, s6, v0
	v_lshlrev_b64 v[0:1], 2, v[0:1]
	v_mov_b32_e32 v3, s1
	v_add_co_u32_e32 v2, vcc, s0, v0
	v_addc_co_u32_e32 v3, vcc, v3, v1, vcc
	global_load_dword v2, v[2:3], off
	v_mov_b32_e32 v3, s3
	v_add_co_u32_e32 v0, vcc, s2, v0
	v_addc_co_u32_e32 v1, vcc, v3, v1, vcc
	s_waitcnt vmcnt(0)
	global_store_dword v[0:1], v2, off
	s_endpgm
	.section	.rodata,"a",@progbits
	.p2align	6, 0x0
	.amdhsa_kernel _Z18warp_reduce_kernelIfLj64ELj1EENSt9enable_ifIXsr10test_utilsE35device_test_enabled_for_warp_size_vIXT1_EEEvE4typeEPT_S4_
		.amdhsa_group_segment_fixed_size 0
		.amdhsa_private_segment_fixed_size 0
		.amdhsa_kernarg_size 272
		.amdhsa_user_sgpr_count 6
		.amdhsa_user_sgpr_private_segment_buffer 1
		.amdhsa_user_sgpr_dispatch_ptr 0
		.amdhsa_user_sgpr_queue_ptr 0
		.amdhsa_user_sgpr_kernarg_segment_ptr 1
		.amdhsa_user_sgpr_dispatch_id 0
		.amdhsa_user_sgpr_flat_scratch_init 0
		.amdhsa_user_sgpr_kernarg_preload_length 0
		.amdhsa_user_sgpr_kernarg_preload_offset 0
		.amdhsa_user_sgpr_private_segment_size 0
		.amdhsa_uses_dynamic_stack 0
		.amdhsa_system_sgpr_private_segment_wavefront_offset 0
		.amdhsa_system_sgpr_workgroup_id_x 1
		.amdhsa_system_sgpr_workgroup_id_y 0
		.amdhsa_system_sgpr_workgroup_id_z 0
		.amdhsa_system_sgpr_workgroup_info 0
		.amdhsa_system_vgpr_workitem_id 0
		.amdhsa_next_free_vgpr 4
		.amdhsa_next_free_sgpr 8
		.amdhsa_accum_offset 4
		.amdhsa_reserve_vcc 1
		.amdhsa_reserve_flat_scratch 0
		.amdhsa_float_round_mode_32 0
		.amdhsa_float_round_mode_16_64 0
		.amdhsa_float_denorm_mode_32 3
		.amdhsa_float_denorm_mode_16_64 3
		.amdhsa_dx10_clamp 1
		.amdhsa_ieee_mode 1
		.amdhsa_fp16_overflow 0
		.amdhsa_tg_split 0
		.amdhsa_exception_fp_ieee_invalid_op 0
		.amdhsa_exception_fp_denorm_src 0
		.amdhsa_exception_fp_ieee_div_zero 0
		.amdhsa_exception_fp_ieee_overflow 0
		.amdhsa_exception_fp_ieee_underflow 0
		.amdhsa_exception_fp_ieee_inexact 0
		.amdhsa_exception_int_div_zero 0
	.end_amdhsa_kernel
	.section	.text._Z18warp_reduce_kernelIfLj64ELj1EENSt9enable_ifIXsr10test_utilsE35device_test_enabled_for_warp_size_vIXT1_EEEvE4typeEPT_S4_,"axG",@progbits,_Z18warp_reduce_kernelIfLj64ELj1EENSt9enable_ifIXsr10test_utilsE35device_test_enabled_for_warp_size_vIXT1_EEEvE4typeEPT_S4_,comdat
.Lfunc_end52:
	.size	_Z18warp_reduce_kernelIfLj64ELj1EENSt9enable_ifIXsr10test_utilsE35device_test_enabled_for_warp_size_vIXT1_EEEvE4typeEPT_S4_, .Lfunc_end52-_Z18warp_reduce_kernelIfLj64ELj1EENSt9enable_ifIXsr10test_utilsE35device_test_enabled_for_warp_size_vIXT1_EEEvE4typeEPT_S4_
                                        ; -- End function
	.section	.AMDGPU.csdata,"",@progbits
; Kernel info:
; codeLenInByte = 96
; NumSgprs: 12
; NumVgprs: 4
; NumAgprs: 0
; TotalNumVgprs: 4
; ScratchSize: 0
; MemoryBound: 0
; FloatMode: 240
; IeeeMode: 1
; LDSByteSize: 0 bytes/workgroup (compile time only)
; SGPRBlocks: 1
; VGPRBlocks: 0
; NumSGPRsForWavesPerEU: 12
; NumVGPRsForWavesPerEU: 4
; AccumOffset: 4
; Occupancy: 8
; WaveLimiterHint : 0
; COMPUTE_PGM_RSRC2:SCRATCH_EN: 0
; COMPUTE_PGM_RSRC2:USER_SGPR: 6
; COMPUTE_PGM_RSRC2:TRAP_HANDLER: 0
; COMPUTE_PGM_RSRC2:TGID_X_EN: 1
; COMPUTE_PGM_RSRC2:TGID_Y_EN: 0
; COMPUTE_PGM_RSRC2:TGID_Z_EN: 0
; COMPUTE_PGM_RSRC2:TIDIG_COMP_CNT: 0
; COMPUTE_PGM_RSRC3_GFX90A:ACCUM_OFFSET: 0
; COMPUTE_PGM_RSRC3_GFX90A:TG_SPLIT: 0
	.section	.text._Z18warp_reduce_kernelIiLj256ELj64EENSt9enable_ifIXsr10test_utilsE35device_test_enabled_for_warp_size_vIXT1_EEEvE4typeEPT_S4_,"axG",@progbits,_Z18warp_reduce_kernelIiLj256ELj64EENSt9enable_ifIXsr10test_utilsE35device_test_enabled_for_warp_size_vIXT1_EEEvE4typeEPT_S4_,comdat
	.protected	_Z18warp_reduce_kernelIiLj256ELj64EENSt9enable_ifIXsr10test_utilsE35device_test_enabled_for_warp_size_vIXT1_EEEvE4typeEPT_S4_ ; -- Begin function _Z18warp_reduce_kernelIiLj256ELj64EENSt9enable_ifIXsr10test_utilsE35device_test_enabled_for_warp_size_vIXT1_EEEvE4typeEPT_S4_
	.globl	_Z18warp_reduce_kernelIiLj256ELj64EENSt9enable_ifIXsr10test_utilsE35device_test_enabled_for_warp_size_vIXT1_EEEvE4typeEPT_S4_
	.p2align	8
	.type	_Z18warp_reduce_kernelIiLj256ELj64EENSt9enable_ifIXsr10test_utilsE35device_test_enabled_for_warp_size_vIXT1_EEEvE4typeEPT_S4_,@function
_Z18warp_reduce_kernelIiLj256ELj64EENSt9enable_ifIXsr10test_utilsE35device_test_enabled_for_warp_size_vIXT1_EEEvE4typeEPT_S4_: ; @_Z18warp_reduce_kernelIiLj256ELj64EENSt9enable_ifIXsr10test_utilsE35device_test_enabled_for_warp_size_vIXT1_EEEvE4typeEPT_S4_
; %bb.0:
	s_load_dword s7, s[4:5], 0x1c
	s_load_dwordx4 s[0:3], s[4:5], 0x0
	v_mov_b32_e32 v3, 0
	s_waitcnt lgkmcnt(0)
	s_and_b32 s4, s7, 0xffff
	s_mul_i32 s6, s6, s4
	v_add_u32_e32 v2, s6, v0
	v_lshlrev_b64 v[4:5], 2, v[2:3]
	v_mov_b32_e32 v1, s1
	v_add_co_u32_e32 v4, vcc, s0, v4
	v_addc_co_u32_e32 v5, vcc, v1, v5, vcc
	global_load_dword v1, v[4:5], off
	v_mbcnt_lo_u32_b32 v3, -1, 0
	v_bfrev_b32_e32 v4, 0.5
	v_mbcnt_hi_u32_b32 v3, -1, v3
	v_lshl_or_b32 v3, v3, 2, v4
	v_and_b32_e32 v0, 63, v0
	v_cmp_eq_u32_e32 vcc, 0, v0
	s_waitcnt vmcnt(0)
	v_mov_b32_dpp v5, v1 quad_perm:[1,0,3,2] row_mask:0xf bank_mask:0xf
	v_add_u32_e32 v1, v5, v1
	s_nop 1
	v_mov_b32_dpp v5, v1 quad_perm:[2,3,0,1] row_mask:0xf bank_mask:0xf
	v_add_u32_e32 v1, v1, v5
	s_nop 1
	v_mov_b32_dpp v5, v1 row_ror:4 row_mask:0xf bank_mask:0xf
	v_add_u32_e32 v1, v1, v5
	s_nop 1
	v_mov_b32_dpp v5, v1 row_ror:8 row_mask:0xf bank_mask:0xf
	v_add_u32_e32 v1, v1, v5
	s_nop 1
	v_mov_b32_dpp v5, v1 row_bcast:15 row_mask:0xf bank_mask:0xf
	v_add_u32_e32 v1, v1, v5
	s_nop 1
	v_mov_b32_dpp v5, v1 row_bcast:31 row_mask:0xf bank_mask:0xf
	v_add_u32_e32 v1, v1, v5
	ds_bpermute_b32 v1, v3, v1
	s_and_saveexec_b64 s[0:1], vcc
	s_cbranch_execz .LBB53_2
; %bb.1:
	v_lshrrev_b32_e32 v0, 4, v2
	v_and_b32_e32 v0, 0xffffffc, v0
	s_waitcnt lgkmcnt(0)
	global_store_dword v0, v1, s[2:3]
.LBB53_2:
	s_endpgm
	.section	.rodata,"a",@progbits
	.p2align	6, 0x0
	.amdhsa_kernel _Z18warp_reduce_kernelIiLj256ELj64EENSt9enable_ifIXsr10test_utilsE35device_test_enabled_for_warp_size_vIXT1_EEEvE4typeEPT_S4_
		.amdhsa_group_segment_fixed_size 0
		.amdhsa_private_segment_fixed_size 0
		.amdhsa_kernarg_size 272
		.amdhsa_user_sgpr_count 6
		.amdhsa_user_sgpr_private_segment_buffer 1
		.amdhsa_user_sgpr_dispatch_ptr 0
		.amdhsa_user_sgpr_queue_ptr 0
		.amdhsa_user_sgpr_kernarg_segment_ptr 1
		.amdhsa_user_sgpr_dispatch_id 0
		.amdhsa_user_sgpr_flat_scratch_init 0
		.amdhsa_user_sgpr_kernarg_preload_length 0
		.amdhsa_user_sgpr_kernarg_preload_offset 0
		.amdhsa_user_sgpr_private_segment_size 0
		.amdhsa_uses_dynamic_stack 0
		.amdhsa_system_sgpr_private_segment_wavefront_offset 0
		.amdhsa_system_sgpr_workgroup_id_x 1
		.amdhsa_system_sgpr_workgroup_id_y 0
		.amdhsa_system_sgpr_workgroup_id_z 0
		.amdhsa_system_sgpr_workgroup_info 0
		.amdhsa_system_vgpr_workitem_id 0
		.amdhsa_next_free_vgpr 6
		.amdhsa_next_free_sgpr 8
		.amdhsa_accum_offset 8
		.amdhsa_reserve_vcc 1
		.amdhsa_reserve_flat_scratch 0
		.amdhsa_float_round_mode_32 0
		.amdhsa_float_round_mode_16_64 0
		.amdhsa_float_denorm_mode_32 3
		.amdhsa_float_denorm_mode_16_64 3
		.amdhsa_dx10_clamp 1
		.amdhsa_ieee_mode 1
		.amdhsa_fp16_overflow 0
		.amdhsa_tg_split 0
		.amdhsa_exception_fp_ieee_invalid_op 0
		.amdhsa_exception_fp_denorm_src 0
		.amdhsa_exception_fp_ieee_div_zero 0
		.amdhsa_exception_fp_ieee_overflow 0
		.amdhsa_exception_fp_ieee_underflow 0
		.amdhsa_exception_fp_ieee_inexact 0
		.amdhsa_exception_int_div_zero 0
	.end_amdhsa_kernel
	.section	.text._Z18warp_reduce_kernelIiLj256ELj64EENSt9enable_ifIXsr10test_utilsE35device_test_enabled_for_warp_size_vIXT1_EEEvE4typeEPT_S4_,"axG",@progbits,_Z18warp_reduce_kernelIiLj256ELj64EENSt9enable_ifIXsr10test_utilsE35device_test_enabled_for_warp_size_vIXT1_EEEvE4typeEPT_S4_,comdat
.Lfunc_end53:
	.size	_Z18warp_reduce_kernelIiLj256ELj64EENSt9enable_ifIXsr10test_utilsE35device_test_enabled_for_warp_size_vIXT1_EEEvE4typeEPT_S4_, .Lfunc_end53-_Z18warp_reduce_kernelIiLj256ELj64EENSt9enable_ifIXsr10test_utilsE35device_test_enabled_for_warp_size_vIXT1_EEEvE4typeEPT_S4_
                                        ; -- End function
	.section	.AMDGPU.csdata,"",@progbits
; Kernel info:
; codeLenInByte = 244
; NumSgprs: 12
; NumVgprs: 6
; NumAgprs: 0
; TotalNumVgprs: 6
; ScratchSize: 0
; MemoryBound: 0
; FloatMode: 240
; IeeeMode: 1
; LDSByteSize: 0 bytes/workgroup (compile time only)
; SGPRBlocks: 1
; VGPRBlocks: 0
; NumSGPRsForWavesPerEU: 12
; NumVGPRsForWavesPerEU: 6
; AccumOffset: 8
; Occupancy: 8
; WaveLimiterHint : 0
; COMPUTE_PGM_RSRC2:SCRATCH_EN: 0
; COMPUTE_PGM_RSRC2:USER_SGPR: 6
; COMPUTE_PGM_RSRC2:TRAP_HANDLER: 0
; COMPUTE_PGM_RSRC2:TGID_X_EN: 1
; COMPUTE_PGM_RSRC2:TGID_Y_EN: 0
; COMPUTE_PGM_RSRC2:TGID_Z_EN: 0
; COMPUTE_PGM_RSRC2:TIDIG_COMP_CNT: 0
; COMPUTE_PGM_RSRC3_GFX90A:ACCUM_OFFSET: 1
; COMPUTE_PGM_RSRC3_GFX90A:TG_SPLIT: 0
	.section	.text._Z18warp_reduce_kernelIiLj128ELj32EENSt9enable_ifIXsr10test_utilsE35device_test_enabled_for_warp_size_vIXT1_EEEvE4typeEPT_S4_,"axG",@progbits,_Z18warp_reduce_kernelIiLj128ELj32EENSt9enable_ifIXsr10test_utilsE35device_test_enabled_for_warp_size_vIXT1_EEEvE4typeEPT_S4_,comdat
	.protected	_Z18warp_reduce_kernelIiLj128ELj32EENSt9enable_ifIXsr10test_utilsE35device_test_enabled_for_warp_size_vIXT1_EEEvE4typeEPT_S4_ ; -- Begin function _Z18warp_reduce_kernelIiLj128ELj32EENSt9enable_ifIXsr10test_utilsE35device_test_enabled_for_warp_size_vIXT1_EEEvE4typeEPT_S4_
	.globl	_Z18warp_reduce_kernelIiLj128ELj32EENSt9enable_ifIXsr10test_utilsE35device_test_enabled_for_warp_size_vIXT1_EEEvE4typeEPT_S4_
	.p2align	8
	.type	_Z18warp_reduce_kernelIiLj128ELj32EENSt9enable_ifIXsr10test_utilsE35device_test_enabled_for_warp_size_vIXT1_EEEvE4typeEPT_S4_,@function
_Z18warp_reduce_kernelIiLj128ELj32EENSt9enable_ifIXsr10test_utilsE35device_test_enabled_for_warp_size_vIXT1_EEEvE4typeEPT_S4_: ; @_Z18warp_reduce_kernelIiLj128ELj32EENSt9enable_ifIXsr10test_utilsE35device_test_enabled_for_warp_size_vIXT1_EEEvE4typeEPT_S4_
; %bb.0:
	s_load_dword s7, s[4:5], 0x1c
	s_load_dwordx4 s[0:3], s[4:5], 0x0
	v_mov_b32_e32 v3, 0
	s_waitcnt lgkmcnt(0)
	s_and_b32 s4, s7, 0xffff
	s_mul_i32 s6, s6, s4
	v_add_u32_e32 v2, s6, v0
	v_lshlrev_b64 v[4:5], 2, v[2:3]
	v_mov_b32_e32 v1, s1
	v_add_co_u32_e32 v4, vcc, s0, v4
	v_addc_co_u32_e32 v5, vcc, v1, v5, vcc
	global_load_dword v1, v[4:5], off
	v_mbcnt_lo_u32_b32 v3, -1, 0
	v_mbcnt_hi_u32_b32 v3, -1, v3
	v_and_b32_e32 v4, 31, v3
	v_cmp_ne_u32_e32 vcc, 31, v4
	v_addc_co_u32_e32 v5, vcc, 0, v3, vcc
	v_lshlrev_b32_e32 v5, 2, v5
	v_cmp_gt_u32_e32 vcc, 30, v4
	v_cndmask_b32_e64 v6, 0, 1, vcc
	v_lshlrev_b32_e32 v6, 1, v6
	v_add_lshl_u32 v6, v6, v3, 2
	v_cmp_gt_u32_e32 vcc, 28, v4
	v_and_b32_e32 v0, 31, v0
	s_waitcnt vmcnt(0)
	ds_bpermute_b32 v5, v5, v1
	s_waitcnt lgkmcnt(0)
	v_add_u32_e32 v1, v5, v1
	ds_bpermute_b32 v5, v6, v1
	v_cndmask_b32_e64 v6, 0, 1, vcc
	v_lshlrev_b32_e32 v6, 2, v6
	v_add_lshl_u32 v6, v6, v3, 2
	v_cmp_gt_u32_e32 vcc, 24, v4
	s_waitcnt lgkmcnt(0)
	v_add_u32_e32 v1, v5, v1
	ds_bpermute_b32 v5, v6, v1
	v_cndmask_b32_e64 v6, 0, 1, vcc
	v_lshlrev_b32_e32 v6, 3, v6
	v_add_lshl_u32 v6, v6, v3, 2
	v_cmp_gt_u32_e32 vcc, 16, v4
	s_waitcnt lgkmcnt(0)
	v_add_u32_e32 v1, v5, v1
	ds_bpermute_b32 v5, v6, v1
	v_cndmask_b32_e64 v4, 0, 1, vcc
	v_lshlrev_b32_e32 v4, 4, v4
	v_add_lshl_u32 v3, v4, v3, 2
	v_cmp_eq_u32_e32 vcc, 0, v0
	s_waitcnt lgkmcnt(0)
	v_add_u32_e32 v1, v5, v1
	ds_bpermute_b32 v3, v3, v1
	s_and_saveexec_b64 s[0:1], vcc
	s_cbranch_execz .LBB54_2
; %bb.1:
	v_lshrrev_b32_e32 v0, 3, v2
	v_and_b32_e32 v0, 0x1ffffffc, v0
	s_waitcnt lgkmcnt(0)
	v_add_u32_e32 v1, v3, v1
	global_store_dword v0, v1, s[2:3]
.LBB54_2:
	s_endpgm
	.section	.rodata,"a",@progbits
	.p2align	6, 0x0
	.amdhsa_kernel _Z18warp_reduce_kernelIiLj128ELj32EENSt9enable_ifIXsr10test_utilsE35device_test_enabled_for_warp_size_vIXT1_EEEvE4typeEPT_S4_
		.amdhsa_group_segment_fixed_size 0
		.amdhsa_private_segment_fixed_size 0
		.amdhsa_kernarg_size 272
		.amdhsa_user_sgpr_count 6
		.amdhsa_user_sgpr_private_segment_buffer 1
		.amdhsa_user_sgpr_dispatch_ptr 0
		.amdhsa_user_sgpr_queue_ptr 0
		.amdhsa_user_sgpr_kernarg_segment_ptr 1
		.amdhsa_user_sgpr_dispatch_id 0
		.amdhsa_user_sgpr_flat_scratch_init 0
		.amdhsa_user_sgpr_kernarg_preload_length 0
		.amdhsa_user_sgpr_kernarg_preload_offset 0
		.amdhsa_user_sgpr_private_segment_size 0
		.amdhsa_uses_dynamic_stack 0
		.amdhsa_system_sgpr_private_segment_wavefront_offset 0
		.amdhsa_system_sgpr_workgroup_id_x 1
		.amdhsa_system_sgpr_workgroup_id_y 0
		.amdhsa_system_sgpr_workgroup_id_z 0
		.amdhsa_system_sgpr_workgroup_info 0
		.amdhsa_system_vgpr_workitem_id 0
		.amdhsa_next_free_vgpr 7
		.amdhsa_next_free_sgpr 8
		.amdhsa_accum_offset 8
		.amdhsa_reserve_vcc 1
		.amdhsa_reserve_flat_scratch 0
		.amdhsa_float_round_mode_32 0
		.amdhsa_float_round_mode_16_64 0
		.amdhsa_float_denorm_mode_32 3
		.amdhsa_float_denorm_mode_16_64 3
		.amdhsa_dx10_clamp 1
		.amdhsa_ieee_mode 1
		.amdhsa_fp16_overflow 0
		.amdhsa_tg_split 0
		.amdhsa_exception_fp_ieee_invalid_op 0
		.amdhsa_exception_fp_denorm_src 0
		.amdhsa_exception_fp_ieee_div_zero 0
		.amdhsa_exception_fp_ieee_overflow 0
		.amdhsa_exception_fp_ieee_underflow 0
		.amdhsa_exception_fp_ieee_inexact 0
		.amdhsa_exception_int_div_zero 0
	.end_amdhsa_kernel
	.section	.text._Z18warp_reduce_kernelIiLj128ELj32EENSt9enable_ifIXsr10test_utilsE35device_test_enabled_for_warp_size_vIXT1_EEEvE4typeEPT_S4_,"axG",@progbits,_Z18warp_reduce_kernelIiLj128ELj32EENSt9enable_ifIXsr10test_utilsE35device_test_enabled_for_warp_size_vIXT1_EEEvE4typeEPT_S4_,comdat
.Lfunc_end54:
	.size	_Z18warp_reduce_kernelIiLj128ELj32EENSt9enable_ifIXsr10test_utilsE35device_test_enabled_for_warp_size_vIXT1_EEEvE4typeEPT_S4_, .Lfunc_end54-_Z18warp_reduce_kernelIiLj128ELj32EENSt9enable_ifIXsr10test_utilsE35device_test_enabled_for_warp_size_vIXT1_EEEvE4typeEPT_S4_
                                        ; -- End function
	.section	.AMDGPU.csdata,"",@progbits
; Kernel info:
; codeLenInByte = 320
; NumSgprs: 12
; NumVgprs: 7
; NumAgprs: 0
; TotalNumVgprs: 7
; ScratchSize: 0
; MemoryBound: 0
; FloatMode: 240
; IeeeMode: 1
; LDSByteSize: 0 bytes/workgroup (compile time only)
; SGPRBlocks: 1
; VGPRBlocks: 0
; NumSGPRsForWavesPerEU: 12
; NumVGPRsForWavesPerEU: 7
; AccumOffset: 8
; Occupancy: 8
; WaveLimiterHint : 0
; COMPUTE_PGM_RSRC2:SCRATCH_EN: 0
; COMPUTE_PGM_RSRC2:USER_SGPR: 6
; COMPUTE_PGM_RSRC2:TRAP_HANDLER: 0
; COMPUTE_PGM_RSRC2:TGID_X_EN: 1
; COMPUTE_PGM_RSRC2:TGID_Y_EN: 0
; COMPUTE_PGM_RSRC2:TGID_Z_EN: 0
; COMPUTE_PGM_RSRC2:TIDIG_COMP_CNT: 0
; COMPUTE_PGM_RSRC3_GFX90A:ACCUM_OFFSET: 1
; COMPUTE_PGM_RSRC3_GFX90A:TG_SPLIT: 0
	.section	.text._Z18warp_reduce_kernelIiLj64ELj16EENSt9enable_ifIXsr10test_utilsE35device_test_enabled_for_warp_size_vIXT1_EEEvE4typeEPT_S4_,"axG",@progbits,_Z18warp_reduce_kernelIiLj64ELj16EENSt9enable_ifIXsr10test_utilsE35device_test_enabled_for_warp_size_vIXT1_EEEvE4typeEPT_S4_,comdat
	.protected	_Z18warp_reduce_kernelIiLj64ELj16EENSt9enable_ifIXsr10test_utilsE35device_test_enabled_for_warp_size_vIXT1_EEEvE4typeEPT_S4_ ; -- Begin function _Z18warp_reduce_kernelIiLj64ELj16EENSt9enable_ifIXsr10test_utilsE35device_test_enabled_for_warp_size_vIXT1_EEEvE4typeEPT_S4_
	.globl	_Z18warp_reduce_kernelIiLj64ELj16EENSt9enable_ifIXsr10test_utilsE35device_test_enabled_for_warp_size_vIXT1_EEEvE4typeEPT_S4_
	.p2align	8
	.type	_Z18warp_reduce_kernelIiLj64ELj16EENSt9enable_ifIXsr10test_utilsE35device_test_enabled_for_warp_size_vIXT1_EEEvE4typeEPT_S4_,@function
_Z18warp_reduce_kernelIiLj64ELj16EENSt9enable_ifIXsr10test_utilsE35device_test_enabled_for_warp_size_vIXT1_EEEvE4typeEPT_S4_: ; @_Z18warp_reduce_kernelIiLj64ELj16EENSt9enable_ifIXsr10test_utilsE35device_test_enabled_for_warp_size_vIXT1_EEEvE4typeEPT_S4_
; %bb.0:
	s_load_dword s7, s[4:5], 0x1c
	s_load_dwordx4 s[0:3], s[4:5], 0x0
	v_mov_b32_e32 v3, 0
	s_waitcnt lgkmcnt(0)
	s_and_b32 s4, s7, 0xffff
	s_mul_i32 s6, s6, s4
	v_add_u32_e32 v2, s6, v0
	v_lshlrev_b64 v[4:5], 2, v[2:3]
	v_mov_b32_e32 v1, s1
	v_add_co_u32_e32 v4, vcc, s0, v4
	v_addc_co_u32_e32 v5, vcc, v1, v5, vcc
	global_load_dword v1, v[4:5], off
	v_mbcnt_lo_u32_b32 v3, -1, 0
	v_mbcnt_hi_u32_b32 v3, -1, v3
	v_and_b32_e32 v4, 15, v3
	v_cmp_ne_u32_e32 vcc, 15, v4
	v_addc_co_u32_e32 v5, vcc, 0, v3, vcc
	v_lshlrev_b32_e32 v5, 2, v5
	v_cmp_gt_u32_e32 vcc, 14, v4
	v_cndmask_b32_e64 v6, 0, 1, vcc
	v_lshlrev_b32_e32 v6, 1, v6
	v_add_lshl_u32 v6, v6, v3, 2
	v_cmp_gt_u32_e32 vcc, 12, v4
	v_and_b32_e32 v0, 15, v0
	s_waitcnt vmcnt(0)
	ds_bpermute_b32 v5, v5, v1
	s_waitcnt lgkmcnt(0)
	v_add_u32_e32 v1, v5, v1
	ds_bpermute_b32 v5, v6, v1
	v_cndmask_b32_e64 v6, 0, 1, vcc
	v_lshlrev_b32_e32 v6, 2, v6
	v_add_lshl_u32 v6, v6, v3, 2
	v_cmp_gt_u32_e32 vcc, 8, v4
	s_waitcnt lgkmcnt(0)
	v_add_u32_e32 v1, v5, v1
	ds_bpermute_b32 v5, v6, v1
	v_cndmask_b32_e64 v4, 0, 1, vcc
	v_lshlrev_b32_e32 v4, 3, v4
	v_add_lshl_u32 v3, v4, v3, 2
	v_cmp_eq_u32_e32 vcc, 0, v0
	s_waitcnt lgkmcnt(0)
	v_add_u32_e32 v1, v5, v1
	ds_bpermute_b32 v3, v3, v1
	s_and_saveexec_b64 s[0:1], vcc
	s_cbranch_execz .LBB55_2
; %bb.1:
	v_lshrrev_b32_e32 v0, 2, v2
	v_and_b32_e32 v0, 0x3ffffffc, v0
	s_waitcnt lgkmcnt(0)
	v_add_u32_e32 v1, v3, v1
	global_store_dword v0, v1, s[2:3]
.LBB55_2:
	s_endpgm
	.section	.rodata,"a",@progbits
	.p2align	6, 0x0
	.amdhsa_kernel _Z18warp_reduce_kernelIiLj64ELj16EENSt9enable_ifIXsr10test_utilsE35device_test_enabled_for_warp_size_vIXT1_EEEvE4typeEPT_S4_
		.amdhsa_group_segment_fixed_size 0
		.amdhsa_private_segment_fixed_size 0
		.amdhsa_kernarg_size 272
		.amdhsa_user_sgpr_count 6
		.amdhsa_user_sgpr_private_segment_buffer 1
		.amdhsa_user_sgpr_dispatch_ptr 0
		.amdhsa_user_sgpr_queue_ptr 0
		.amdhsa_user_sgpr_kernarg_segment_ptr 1
		.amdhsa_user_sgpr_dispatch_id 0
		.amdhsa_user_sgpr_flat_scratch_init 0
		.amdhsa_user_sgpr_kernarg_preload_length 0
		.amdhsa_user_sgpr_kernarg_preload_offset 0
		.amdhsa_user_sgpr_private_segment_size 0
		.amdhsa_uses_dynamic_stack 0
		.amdhsa_system_sgpr_private_segment_wavefront_offset 0
		.amdhsa_system_sgpr_workgroup_id_x 1
		.amdhsa_system_sgpr_workgroup_id_y 0
		.amdhsa_system_sgpr_workgroup_id_z 0
		.amdhsa_system_sgpr_workgroup_info 0
		.amdhsa_system_vgpr_workitem_id 0
		.amdhsa_next_free_vgpr 7
		.amdhsa_next_free_sgpr 8
		.amdhsa_accum_offset 8
		.amdhsa_reserve_vcc 1
		.amdhsa_reserve_flat_scratch 0
		.amdhsa_float_round_mode_32 0
		.amdhsa_float_round_mode_16_64 0
		.amdhsa_float_denorm_mode_32 3
		.amdhsa_float_denorm_mode_16_64 3
		.amdhsa_dx10_clamp 1
		.amdhsa_ieee_mode 1
		.amdhsa_fp16_overflow 0
		.amdhsa_tg_split 0
		.amdhsa_exception_fp_ieee_invalid_op 0
		.amdhsa_exception_fp_denorm_src 0
		.amdhsa_exception_fp_ieee_div_zero 0
		.amdhsa_exception_fp_ieee_overflow 0
		.amdhsa_exception_fp_ieee_underflow 0
		.amdhsa_exception_fp_ieee_inexact 0
		.amdhsa_exception_int_div_zero 0
	.end_amdhsa_kernel
	.section	.text._Z18warp_reduce_kernelIiLj64ELj16EENSt9enable_ifIXsr10test_utilsE35device_test_enabled_for_warp_size_vIXT1_EEEvE4typeEPT_S4_,"axG",@progbits,_Z18warp_reduce_kernelIiLj64ELj16EENSt9enable_ifIXsr10test_utilsE35device_test_enabled_for_warp_size_vIXT1_EEEvE4typeEPT_S4_,comdat
.Lfunc_end55:
	.size	_Z18warp_reduce_kernelIiLj64ELj16EENSt9enable_ifIXsr10test_utilsE35device_test_enabled_for_warp_size_vIXT1_EEEvE4typeEPT_S4_, .Lfunc_end55-_Z18warp_reduce_kernelIiLj64ELj16EENSt9enable_ifIXsr10test_utilsE35device_test_enabled_for_warp_size_vIXT1_EEEvE4typeEPT_S4_
                                        ; -- End function
	.section	.AMDGPU.csdata,"",@progbits
; Kernel info:
; codeLenInByte = 280
; NumSgprs: 12
; NumVgprs: 7
; NumAgprs: 0
; TotalNumVgprs: 7
; ScratchSize: 0
; MemoryBound: 0
; FloatMode: 240
; IeeeMode: 1
; LDSByteSize: 0 bytes/workgroup (compile time only)
; SGPRBlocks: 1
; VGPRBlocks: 0
; NumSGPRsForWavesPerEU: 12
; NumVGPRsForWavesPerEU: 7
; AccumOffset: 8
; Occupancy: 8
; WaveLimiterHint : 0
; COMPUTE_PGM_RSRC2:SCRATCH_EN: 0
; COMPUTE_PGM_RSRC2:USER_SGPR: 6
; COMPUTE_PGM_RSRC2:TRAP_HANDLER: 0
; COMPUTE_PGM_RSRC2:TGID_X_EN: 1
; COMPUTE_PGM_RSRC2:TGID_Y_EN: 0
; COMPUTE_PGM_RSRC2:TGID_Z_EN: 0
; COMPUTE_PGM_RSRC2:TIDIG_COMP_CNT: 0
; COMPUTE_PGM_RSRC3_GFX90A:ACCUM_OFFSET: 1
; COMPUTE_PGM_RSRC3_GFX90A:TG_SPLIT: 0
	.section	.text._Z18warp_reduce_kernelIiLj32ELj8EENSt9enable_ifIXsr10test_utilsE35device_test_enabled_for_warp_size_vIXT1_EEEvE4typeEPT_S4_,"axG",@progbits,_Z18warp_reduce_kernelIiLj32ELj8EENSt9enable_ifIXsr10test_utilsE35device_test_enabled_for_warp_size_vIXT1_EEEvE4typeEPT_S4_,comdat
	.protected	_Z18warp_reduce_kernelIiLj32ELj8EENSt9enable_ifIXsr10test_utilsE35device_test_enabled_for_warp_size_vIXT1_EEEvE4typeEPT_S4_ ; -- Begin function _Z18warp_reduce_kernelIiLj32ELj8EENSt9enable_ifIXsr10test_utilsE35device_test_enabled_for_warp_size_vIXT1_EEEvE4typeEPT_S4_
	.globl	_Z18warp_reduce_kernelIiLj32ELj8EENSt9enable_ifIXsr10test_utilsE35device_test_enabled_for_warp_size_vIXT1_EEEvE4typeEPT_S4_
	.p2align	8
	.type	_Z18warp_reduce_kernelIiLj32ELj8EENSt9enable_ifIXsr10test_utilsE35device_test_enabled_for_warp_size_vIXT1_EEEvE4typeEPT_S4_,@function
_Z18warp_reduce_kernelIiLj32ELj8EENSt9enable_ifIXsr10test_utilsE35device_test_enabled_for_warp_size_vIXT1_EEEvE4typeEPT_S4_: ; @_Z18warp_reduce_kernelIiLj32ELj8EENSt9enable_ifIXsr10test_utilsE35device_test_enabled_for_warp_size_vIXT1_EEEvE4typeEPT_S4_
; %bb.0:
	s_load_dword s7, s[4:5], 0x1c
	s_load_dwordx4 s[0:3], s[4:5], 0x0
	v_mov_b32_e32 v3, 0
	s_waitcnt lgkmcnt(0)
	s_and_b32 s4, s7, 0xffff
	s_mul_i32 s6, s6, s4
	v_add_u32_e32 v2, s6, v0
	v_lshlrev_b64 v[4:5], 2, v[2:3]
	v_mov_b32_e32 v1, s1
	v_add_co_u32_e32 v4, vcc, s0, v4
	v_addc_co_u32_e32 v5, vcc, v1, v5, vcc
	global_load_dword v1, v[4:5], off
	v_mbcnt_lo_u32_b32 v3, -1, 0
	v_mbcnt_hi_u32_b32 v3, -1, v3
	v_and_b32_e32 v4, 7, v3
	v_cmp_ne_u32_e32 vcc, 7, v4
	v_addc_co_u32_e32 v5, vcc, 0, v3, vcc
	v_lshlrev_b32_e32 v5, 2, v5
	v_cmp_gt_u32_e32 vcc, 6, v4
	v_cndmask_b32_e64 v6, 0, 1, vcc
	v_lshlrev_b32_e32 v6, 1, v6
	v_add_lshl_u32 v6, v6, v3, 2
	v_cmp_gt_u32_e32 vcc, 4, v4
	v_cndmask_b32_e64 v4, 0, 1, vcc
	v_lshlrev_b32_e32 v4, 2, v4
	v_add_lshl_u32 v3, v4, v3, 2
	v_and_b32_e32 v0, 7, v0
	v_cmp_eq_u32_e32 vcc, 0, v0
	s_waitcnt vmcnt(0)
	ds_bpermute_b32 v5, v5, v1
	s_waitcnt lgkmcnt(0)
	v_add_u32_e32 v1, v5, v1
	ds_bpermute_b32 v5, v6, v1
	s_waitcnt lgkmcnt(0)
	v_add_u32_e32 v1, v5, v1
	ds_bpermute_b32 v3, v3, v1
	s_and_saveexec_b64 s[0:1], vcc
	s_cbranch_execz .LBB56_2
; %bb.1:
	v_lshrrev_b32_e32 v0, 1, v2
	v_and_b32_e32 v0, 0x7ffffffc, v0
	s_waitcnt lgkmcnt(0)
	v_add_u32_e32 v1, v3, v1
	global_store_dword v0, v1, s[2:3]
.LBB56_2:
	s_endpgm
	.section	.rodata,"a",@progbits
	.p2align	6, 0x0
	.amdhsa_kernel _Z18warp_reduce_kernelIiLj32ELj8EENSt9enable_ifIXsr10test_utilsE35device_test_enabled_for_warp_size_vIXT1_EEEvE4typeEPT_S4_
		.amdhsa_group_segment_fixed_size 0
		.amdhsa_private_segment_fixed_size 0
		.amdhsa_kernarg_size 272
		.amdhsa_user_sgpr_count 6
		.amdhsa_user_sgpr_private_segment_buffer 1
		.amdhsa_user_sgpr_dispatch_ptr 0
		.amdhsa_user_sgpr_queue_ptr 0
		.amdhsa_user_sgpr_kernarg_segment_ptr 1
		.amdhsa_user_sgpr_dispatch_id 0
		.amdhsa_user_sgpr_flat_scratch_init 0
		.amdhsa_user_sgpr_kernarg_preload_length 0
		.amdhsa_user_sgpr_kernarg_preload_offset 0
		.amdhsa_user_sgpr_private_segment_size 0
		.amdhsa_uses_dynamic_stack 0
		.amdhsa_system_sgpr_private_segment_wavefront_offset 0
		.amdhsa_system_sgpr_workgroup_id_x 1
		.amdhsa_system_sgpr_workgroup_id_y 0
		.amdhsa_system_sgpr_workgroup_id_z 0
		.amdhsa_system_sgpr_workgroup_info 0
		.amdhsa_system_vgpr_workitem_id 0
		.amdhsa_next_free_vgpr 7
		.amdhsa_next_free_sgpr 8
		.amdhsa_accum_offset 8
		.amdhsa_reserve_vcc 1
		.amdhsa_reserve_flat_scratch 0
		.amdhsa_float_round_mode_32 0
		.amdhsa_float_round_mode_16_64 0
		.amdhsa_float_denorm_mode_32 3
		.amdhsa_float_denorm_mode_16_64 3
		.amdhsa_dx10_clamp 1
		.amdhsa_ieee_mode 1
		.amdhsa_fp16_overflow 0
		.amdhsa_tg_split 0
		.amdhsa_exception_fp_ieee_invalid_op 0
		.amdhsa_exception_fp_denorm_src 0
		.amdhsa_exception_fp_ieee_div_zero 0
		.amdhsa_exception_fp_ieee_overflow 0
		.amdhsa_exception_fp_ieee_underflow 0
		.amdhsa_exception_fp_ieee_inexact 0
		.amdhsa_exception_int_div_zero 0
	.end_amdhsa_kernel
	.section	.text._Z18warp_reduce_kernelIiLj32ELj8EENSt9enable_ifIXsr10test_utilsE35device_test_enabled_for_warp_size_vIXT1_EEEvE4typeEPT_S4_,"axG",@progbits,_Z18warp_reduce_kernelIiLj32ELj8EENSt9enable_ifIXsr10test_utilsE35device_test_enabled_for_warp_size_vIXT1_EEEvE4typeEPT_S4_,comdat
.Lfunc_end56:
	.size	_Z18warp_reduce_kernelIiLj32ELj8EENSt9enable_ifIXsr10test_utilsE35device_test_enabled_for_warp_size_vIXT1_EEEvE4typeEPT_S4_, .Lfunc_end56-_Z18warp_reduce_kernelIiLj32ELj8EENSt9enable_ifIXsr10test_utilsE35device_test_enabled_for_warp_size_vIXT1_EEEvE4typeEPT_S4_
                                        ; -- End function
	.section	.AMDGPU.csdata,"",@progbits
; Kernel info:
; codeLenInByte = 240
; NumSgprs: 12
; NumVgprs: 7
; NumAgprs: 0
; TotalNumVgprs: 7
; ScratchSize: 0
; MemoryBound: 0
; FloatMode: 240
; IeeeMode: 1
; LDSByteSize: 0 bytes/workgroup (compile time only)
; SGPRBlocks: 1
; VGPRBlocks: 0
; NumSGPRsForWavesPerEU: 12
; NumVGPRsForWavesPerEU: 7
; AccumOffset: 8
; Occupancy: 8
; WaveLimiterHint : 0
; COMPUTE_PGM_RSRC2:SCRATCH_EN: 0
; COMPUTE_PGM_RSRC2:USER_SGPR: 6
; COMPUTE_PGM_RSRC2:TRAP_HANDLER: 0
; COMPUTE_PGM_RSRC2:TGID_X_EN: 1
; COMPUTE_PGM_RSRC2:TGID_Y_EN: 0
; COMPUTE_PGM_RSRC2:TGID_Z_EN: 0
; COMPUTE_PGM_RSRC2:TIDIG_COMP_CNT: 0
; COMPUTE_PGM_RSRC3_GFX90A:ACCUM_OFFSET: 1
; COMPUTE_PGM_RSRC3_GFX90A:TG_SPLIT: 0
	.section	.text._Z18warp_reduce_kernelIiLj64ELj8EENSt9enable_ifIXsr10test_utilsE35device_test_enabled_for_warp_size_vIXT1_EEEvE4typeEPT_S4_,"axG",@progbits,_Z18warp_reduce_kernelIiLj64ELj8EENSt9enable_ifIXsr10test_utilsE35device_test_enabled_for_warp_size_vIXT1_EEEvE4typeEPT_S4_,comdat
	.protected	_Z18warp_reduce_kernelIiLj64ELj8EENSt9enable_ifIXsr10test_utilsE35device_test_enabled_for_warp_size_vIXT1_EEEvE4typeEPT_S4_ ; -- Begin function _Z18warp_reduce_kernelIiLj64ELj8EENSt9enable_ifIXsr10test_utilsE35device_test_enabled_for_warp_size_vIXT1_EEEvE4typeEPT_S4_
	.globl	_Z18warp_reduce_kernelIiLj64ELj8EENSt9enable_ifIXsr10test_utilsE35device_test_enabled_for_warp_size_vIXT1_EEEvE4typeEPT_S4_
	.p2align	8
	.type	_Z18warp_reduce_kernelIiLj64ELj8EENSt9enable_ifIXsr10test_utilsE35device_test_enabled_for_warp_size_vIXT1_EEEvE4typeEPT_S4_,@function
_Z18warp_reduce_kernelIiLj64ELj8EENSt9enable_ifIXsr10test_utilsE35device_test_enabled_for_warp_size_vIXT1_EEEvE4typeEPT_S4_: ; @_Z18warp_reduce_kernelIiLj64ELj8EENSt9enable_ifIXsr10test_utilsE35device_test_enabled_for_warp_size_vIXT1_EEEvE4typeEPT_S4_
; %bb.0:
	s_load_dword s7, s[4:5], 0x1c
	s_load_dwordx4 s[0:3], s[4:5], 0x0
	v_mov_b32_e32 v3, 0
	s_waitcnt lgkmcnt(0)
	s_and_b32 s4, s7, 0xffff
	s_mul_i32 s6, s6, s4
	v_add_u32_e32 v2, s6, v0
	v_lshlrev_b64 v[4:5], 2, v[2:3]
	v_mov_b32_e32 v1, s1
	v_add_co_u32_e32 v4, vcc, s0, v4
	v_addc_co_u32_e32 v5, vcc, v1, v5, vcc
	global_load_dword v1, v[4:5], off
	v_mbcnt_lo_u32_b32 v3, -1, 0
	v_mbcnt_hi_u32_b32 v3, -1, v3
	v_and_b32_e32 v4, 7, v3
	v_cmp_ne_u32_e32 vcc, 7, v4
	v_addc_co_u32_e32 v5, vcc, 0, v3, vcc
	v_lshlrev_b32_e32 v5, 2, v5
	v_cmp_gt_u32_e32 vcc, 6, v4
	v_cndmask_b32_e64 v6, 0, 1, vcc
	v_lshlrev_b32_e32 v6, 1, v6
	v_add_lshl_u32 v6, v6, v3, 2
	v_cmp_gt_u32_e32 vcc, 4, v4
	v_cndmask_b32_e64 v4, 0, 1, vcc
	v_lshlrev_b32_e32 v4, 2, v4
	v_add_lshl_u32 v3, v4, v3, 2
	v_and_b32_e32 v0, 7, v0
	v_cmp_eq_u32_e32 vcc, 0, v0
	s_waitcnt vmcnt(0)
	ds_bpermute_b32 v5, v5, v1
	s_waitcnt lgkmcnt(0)
	v_add_u32_e32 v1, v5, v1
	ds_bpermute_b32 v5, v6, v1
	s_waitcnt lgkmcnt(0)
	v_add_u32_e32 v1, v5, v1
	ds_bpermute_b32 v3, v3, v1
	s_and_saveexec_b64 s[0:1], vcc
	s_cbranch_execz .LBB57_2
; %bb.1:
	v_lshrrev_b32_e32 v0, 1, v2
	v_and_b32_e32 v0, 0x7ffffffc, v0
	s_waitcnt lgkmcnt(0)
	v_add_u32_e32 v1, v3, v1
	global_store_dword v0, v1, s[2:3]
.LBB57_2:
	s_endpgm
	.section	.rodata,"a",@progbits
	.p2align	6, 0x0
	.amdhsa_kernel _Z18warp_reduce_kernelIiLj64ELj8EENSt9enable_ifIXsr10test_utilsE35device_test_enabled_for_warp_size_vIXT1_EEEvE4typeEPT_S4_
		.amdhsa_group_segment_fixed_size 0
		.amdhsa_private_segment_fixed_size 0
		.amdhsa_kernarg_size 272
		.amdhsa_user_sgpr_count 6
		.amdhsa_user_sgpr_private_segment_buffer 1
		.amdhsa_user_sgpr_dispatch_ptr 0
		.amdhsa_user_sgpr_queue_ptr 0
		.amdhsa_user_sgpr_kernarg_segment_ptr 1
		.amdhsa_user_sgpr_dispatch_id 0
		.amdhsa_user_sgpr_flat_scratch_init 0
		.amdhsa_user_sgpr_kernarg_preload_length 0
		.amdhsa_user_sgpr_kernarg_preload_offset 0
		.amdhsa_user_sgpr_private_segment_size 0
		.amdhsa_uses_dynamic_stack 0
		.amdhsa_system_sgpr_private_segment_wavefront_offset 0
		.amdhsa_system_sgpr_workgroup_id_x 1
		.amdhsa_system_sgpr_workgroup_id_y 0
		.amdhsa_system_sgpr_workgroup_id_z 0
		.amdhsa_system_sgpr_workgroup_info 0
		.amdhsa_system_vgpr_workitem_id 0
		.amdhsa_next_free_vgpr 7
		.amdhsa_next_free_sgpr 8
		.amdhsa_accum_offset 8
		.amdhsa_reserve_vcc 1
		.amdhsa_reserve_flat_scratch 0
		.amdhsa_float_round_mode_32 0
		.amdhsa_float_round_mode_16_64 0
		.amdhsa_float_denorm_mode_32 3
		.amdhsa_float_denorm_mode_16_64 3
		.amdhsa_dx10_clamp 1
		.amdhsa_ieee_mode 1
		.amdhsa_fp16_overflow 0
		.amdhsa_tg_split 0
		.amdhsa_exception_fp_ieee_invalid_op 0
		.amdhsa_exception_fp_denorm_src 0
		.amdhsa_exception_fp_ieee_div_zero 0
		.amdhsa_exception_fp_ieee_overflow 0
		.amdhsa_exception_fp_ieee_underflow 0
		.amdhsa_exception_fp_ieee_inexact 0
		.amdhsa_exception_int_div_zero 0
	.end_amdhsa_kernel
	.section	.text._Z18warp_reduce_kernelIiLj64ELj8EENSt9enable_ifIXsr10test_utilsE35device_test_enabled_for_warp_size_vIXT1_EEEvE4typeEPT_S4_,"axG",@progbits,_Z18warp_reduce_kernelIiLj64ELj8EENSt9enable_ifIXsr10test_utilsE35device_test_enabled_for_warp_size_vIXT1_EEEvE4typeEPT_S4_,comdat
.Lfunc_end57:
	.size	_Z18warp_reduce_kernelIiLj64ELj8EENSt9enable_ifIXsr10test_utilsE35device_test_enabled_for_warp_size_vIXT1_EEEvE4typeEPT_S4_, .Lfunc_end57-_Z18warp_reduce_kernelIiLj64ELj8EENSt9enable_ifIXsr10test_utilsE35device_test_enabled_for_warp_size_vIXT1_EEEvE4typeEPT_S4_
                                        ; -- End function
	.section	.AMDGPU.csdata,"",@progbits
; Kernel info:
; codeLenInByte = 240
; NumSgprs: 12
; NumVgprs: 7
; NumAgprs: 0
; TotalNumVgprs: 7
; ScratchSize: 0
; MemoryBound: 0
; FloatMode: 240
; IeeeMode: 1
; LDSByteSize: 0 bytes/workgroup (compile time only)
; SGPRBlocks: 1
; VGPRBlocks: 0
; NumSGPRsForWavesPerEU: 12
; NumVGPRsForWavesPerEU: 7
; AccumOffset: 8
; Occupancy: 8
; WaveLimiterHint : 0
; COMPUTE_PGM_RSRC2:SCRATCH_EN: 0
; COMPUTE_PGM_RSRC2:USER_SGPR: 6
; COMPUTE_PGM_RSRC2:TRAP_HANDLER: 0
; COMPUTE_PGM_RSRC2:TGID_X_EN: 1
; COMPUTE_PGM_RSRC2:TGID_Y_EN: 0
; COMPUTE_PGM_RSRC2:TGID_Z_EN: 0
; COMPUTE_PGM_RSRC2:TIDIG_COMP_CNT: 0
; COMPUTE_PGM_RSRC3_GFX90A:ACCUM_OFFSET: 1
; COMPUTE_PGM_RSRC3_GFX90A:TG_SPLIT: 0
	.section	.text._Z18warp_reduce_kernelIiLj32ELj4EENSt9enable_ifIXsr10test_utilsE35device_test_enabled_for_warp_size_vIXT1_EEEvE4typeEPT_S4_,"axG",@progbits,_Z18warp_reduce_kernelIiLj32ELj4EENSt9enable_ifIXsr10test_utilsE35device_test_enabled_for_warp_size_vIXT1_EEEvE4typeEPT_S4_,comdat
	.protected	_Z18warp_reduce_kernelIiLj32ELj4EENSt9enable_ifIXsr10test_utilsE35device_test_enabled_for_warp_size_vIXT1_EEEvE4typeEPT_S4_ ; -- Begin function _Z18warp_reduce_kernelIiLj32ELj4EENSt9enable_ifIXsr10test_utilsE35device_test_enabled_for_warp_size_vIXT1_EEEvE4typeEPT_S4_
	.globl	_Z18warp_reduce_kernelIiLj32ELj4EENSt9enable_ifIXsr10test_utilsE35device_test_enabled_for_warp_size_vIXT1_EEEvE4typeEPT_S4_
	.p2align	8
	.type	_Z18warp_reduce_kernelIiLj32ELj4EENSt9enable_ifIXsr10test_utilsE35device_test_enabled_for_warp_size_vIXT1_EEEvE4typeEPT_S4_,@function
_Z18warp_reduce_kernelIiLj32ELj4EENSt9enable_ifIXsr10test_utilsE35device_test_enabled_for_warp_size_vIXT1_EEEvE4typeEPT_S4_: ; @_Z18warp_reduce_kernelIiLj32ELj4EENSt9enable_ifIXsr10test_utilsE35device_test_enabled_for_warp_size_vIXT1_EEEvE4typeEPT_S4_
; %bb.0:
	s_load_dword s7, s[4:5], 0x1c
	s_load_dwordx4 s[0:3], s[4:5], 0x0
	v_mov_b32_e32 v3, 0
	s_waitcnt lgkmcnt(0)
	s_and_b32 s4, s7, 0xffff
	s_mul_i32 s6, s6, s4
	v_add_u32_e32 v2, s6, v0
	v_lshlrev_b64 v[4:5], 2, v[2:3]
	v_mov_b32_e32 v1, s1
	v_add_co_u32_e32 v4, vcc, s0, v4
	v_addc_co_u32_e32 v5, vcc, v1, v5, vcc
	global_load_dword v1, v[4:5], off
	v_mbcnt_lo_u32_b32 v3, -1, 0
	v_mbcnt_hi_u32_b32 v3, -1, v3
	v_and_b32_e32 v4, 3, v3
	v_cmp_ne_u32_e32 vcc, 3, v4
	v_addc_co_u32_e32 v5, vcc, 0, v3, vcc
	v_lshlrev_b32_e32 v5, 2, v5
	v_cmp_gt_u32_e32 vcc, 2, v4
	v_cndmask_b32_e64 v4, 0, 1, vcc
	v_lshlrev_b32_e32 v4, 1, v4
	v_add_lshl_u32 v3, v4, v3, 2
	v_and_b32_e32 v0, 3, v0
	v_cmp_eq_u32_e32 vcc, 0, v0
	s_waitcnt vmcnt(0)
	ds_bpermute_b32 v5, v5, v1
	s_waitcnt lgkmcnt(0)
	v_add_u32_e32 v1, v5, v1
	ds_bpermute_b32 v3, v3, v1
	s_and_saveexec_b64 s[0:1], vcc
	s_cbranch_execz .LBB58_2
; %bb.1:
	v_and_b32_e32 v0, -4, v2
	s_waitcnt lgkmcnt(0)
	v_add_u32_e32 v1, v3, v1
	global_store_dword v0, v1, s[2:3]
.LBB58_2:
	s_endpgm
	.section	.rodata,"a",@progbits
	.p2align	6, 0x0
	.amdhsa_kernel _Z18warp_reduce_kernelIiLj32ELj4EENSt9enable_ifIXsr10test_utilsE35device_test_enabled_for_warp_size_vIXT1_EEEvE4typeEPT_S4_
		.amdhsa_group_segment_fixed_size 0
		.amdhsa_private_segment_fixed_size 0
		.amdhsa_kernarg_size 272
		.amdhsa_user_sgpr_count 6
		.amdhsa_user_sgpr_private_segment_buffer 1
		.amdhsa_user_sgpr_dispatch_ptr 0
		.amdhsa_user_sgpr_queue_ptr 0
		.amdhsa_user_sgpr_kernarg_segment_ptr 1
		.amdhsa_user_sgpr_dispatch_id 0
		.amdhsa_user_sgpr_flat_scratch_init 0
		.amdhsa_user_sgpr_kernarg_preload_length 0
		.amdhsa_user_sgpr_kernarg_preload_offset 0
		.amdhsa_user_sgpr_private_segment_size 0
		.amdhsa_uses_dynamic_stack 0
		.amdhsa_system_sgpr_private_segment_wavefront_offset 0
		.amdhsa_system_sgpr_workgroup_id_x 1
		.amdhsa_system_sgpr_workgroup_id_y 0
		.amdhsa_system_sgpr_workgroup_id_z 0
		.amdhsa_system_sgpr_workgroup_info 0
		.amdhsa_system_vgpr_workitem_id 0
		.amdhsa_next_free_vgpr 6
		.amdhsa_next_free_sgpr 8
		.amdhsa_accum_offset 8
		.amdhsa_reserve_vcc 1
		.amdhsa_reserve_flat_scratch 0
		.amdhsa_float_round_mode_32 0
		.amdhsa_float_round_mode_16_64 0
		.amdhsa_float_denorm_mode_32 3
		.amdhsa_float_denorm_mode_16_64 3
		.amdhsa_dx10_clamp 1
		.amdhsa_ieee_mode 1
		.amdhsa_fp16_overflow 0
		.amdhsa_tg_split 0
		.amdhsa_exception_fp_ieee_invalid_op 0
		.amdhsa_exception_fp_denorm_src 0
		.amdhsa_exception_fp_ieee_div_zero 0
		.amdhsa_exception_fp_ieee_overflow 0
		.amdhsa_exception_fp_ieee_underflow 0
		.amdhsa_exception_fp_ieee_inexact 0
		.amdhsa_exception_int_div_zero 0
	.end_amdhsa_kernel
	.section	.text._Z18warp_reduce_kernelIiLj32ELj4EENSt9enable_ifIXsr10test_utilsE35device_test_enabled_for_warp_size_vIXT1_EEEvE4typeEPT_S4_,"axG",@progbits,_Z18warp_reduce_kernelIiLj32ELj4EENSt9enable_ifIXsr10test_utilsE35device_test_enabled_for_warp_size_vIXT1_EEEvE4typeEPT_S4_,comdat
.Lfunc_end58:
	.size	_Z18warp_reduce_kernelIiLj32ELj4EENSt9enable_ifIXsr10test_utilsE35device_test_enabled_for_warp_size_vIXT1_EEEvE4typeEPT_S4_, .Lfunc_end58-_Z18warp_reduce_kernelIiLj32ELj4EENSt9enable_ifIXsr10test_utilsE35device_test_enabled_for_warp_size_vIXT1_EEEvE4typeEPT_S4_
                                        ; -- End function
	.section	.AMDGPU.csdata,"",@progbits
; Kernel info:
; codeLenInByte = 192
; NumSgprs: 12
; NumVgprs: 6
; NumAgprs: 0
; TotalNumVgprs: 6
; ScratchSize: 0
; MemoryBound: 0
; FloatMode: 240
; IeeeMode: 1
; LDSByteSize: 0 bytes/workgroup (compile time only)
; SGPRBlocks: 1
; VGPRBlocks: 0
; NumSGPRsForWavesPerEU: 12
; NumVGPRsForWavesPerEU: 6
; AccumOffset: 8
; Occupancy: 8
; WaveLimiterHint : 0
; COMPUTE_PGM_RSRC2:SCRATCH_EN: 0
; COMPUTE_PGM_RSRC2:USER_SGPR: 6
; COMPUTE_PGM_RSRC2:TRAP_HANDLER: 0
; COMPUTE_PGM_RSRC2:TGID_X_EN: 1
; COMPUTE_PGM_RSRC2:TGID_Y_EN: 0
; COMPUTE_PGM_RSRC2:TGID_Z_EN: 0
; COMPUTE_PGM_RSRC2:TIDIG_COMP_CNT: 0
; COMPUTE_PGM_RSRC3_GFX90A:ACCUM_OFFSET: 1
; COMPUTE_PGM_RSRC3_GFX90A:TG_SPLIT: 0
	.section	.text._Z18warp_reduce_kernelIiLj64ELj4EENSt9enable_ifIXsr10test_utilsE35device_test_enabled_for_warp_size_vIXT1_EEEvE4typeEPT_S4_,"axG",@progbits,_Z18warp_reduce_kernelIiLj64ELj4EENSt9enable_ifIXsr10test_utilsE35device_test_enabled_for_warp_size_vIXT1_EEEvE4typeEPT_S4_,comdat
	.protected	_Z18warp_reduce_kernelIiLj64ELj4EENSt9enable_ifIXsr10test_utilsE35device_test_enabled_for_warp_size_vIXT1_EEEvE4typeEPT_S4_ ; -- Begin function _Z18warp_reduce_kernelIiLj64ELj4EENSt9enable_ifIXsr10test_utilsE35device_test_enabled_for_warp_size_vIXT1_EEEvE4typeEPT_S4_
	.globl	_Z18warp_reduce_kernelIiLj64ELj4EENSt9enable_ifIXsr10test_utilsE35device_test_enabled_for_warp_size_vIXT1_EEEvE4typeEPT_S4_
	.p2align	8
	.type	_Z18warp_reduce_kernelIiLj64ELj4EENSt9enable_ifIXsr10test_utilsE35device_test_enabled_for_warp_size_vIXT1_EEEvE4typeEPT_S4_,@function
_Z18warp_reduce_kernelIiLj64ELj4EENSt9enable_ifIXsr10test_utilsE35device_test_enabled_for_warp_size_vIXT1_EEEvE4typeEPT_S4_: ; @_Z18warp_reduce_kernelIiLj64ELj4EENSt9enable_ifIXsr10test_utilsE35device_test_enabled_for_warp_size_vIXT1_EEEvE4typeEPT_S4_
; %bb.0:
	s_load_dword s7, s[4:5], 0x1c
	s_load_dwordx4 s[0:3], s[4:5], 0x0
	v_mov_b32_e32 v3, 0
	s_waitcnt lgkmcnt(0)
	s_and_b32 s4, s7, 0xffff
	s_mul_i32 s6, s6, s4
	v_add_u32_e32 v2, s6, v0
	v_lshlrev_b64 v[4:5], 2, v[2:3]
	v_mov_b32_e32 v1, s1
	v_add_co_u32_e32 v4, vcc, s0, v4
	v_addc_co_u32_e32 v5, vcc, v1, v5, vcc
	global_load_dword v1, v[4:5], off
	v_mbcnt_lo_u32_b32 v3, -1, 0
	v_mbcnt_hi_u32_b32 v3, -1, v3
	v_and_b32_e32 v4, 3, v3
	v_cmp_ne_u32_e32 vcc, 3, v4
	v_addc_co_u32_e32 v5, vcc, 0, v3, vcc
	v_lshlrev_b32_e32 v5, 2, v5
	v_cmp_gt_u32_e32 vcc, 2, v4
	v_cndmask_b32_e64 v4, 0, 1, vcc
	v_lshlrev_b32_e32 v4, 1, v4
	v_add_lshl_u32 v3, v4, v3, 2
	v_and_b32_e32 v0, 3, v0
	v_cmp_eq_u32_e32 vcc, 0, v0
	s_waitcnt vmcnt(0)
	ds_bpermute_b32 v5, v5, v1
	s_waitcnt lgkmcnt(0)
	v_add_u32_e32 v1, v5, v1
	ds_bpermute_b32 v3, v3, v1
	s_and_saveexec_b64 s[0:1], vcc
	s_cbranch_execz .LBB59_2
; %bb.1:
	v_and_b32_e32 v0, -4, v2
	s_waitcnt lgkmcnt(0)
	v_add_u32_e32 v1, v3, v1
	global_store_dword v0, v1, s[2:3]
.LBB59_2:
	s_endpgm
	.section	.rodata,"a",@progbits
	.p2align	6, 0x0
	.amdhsa_kernel _Z18warp_reduce_kernelIiLj64ELj4EENSt9enable_ifIXsr10test_utilsE35device_test_enabled_for_warp_size_vIXT1_EEEvE4typeEPT_S4_
		.amdhsa_group_segment_fixed_size 0
		.amdhsa_private_segment_fixed_size 0
		.amdhsa_kernarg_size 272
		.amdhsa_user_sgpr_count 6
		.amdhsa_user_sgpr_private_segment_buffer 1
		.amdhsa_user_sgpr_dispatch_ptr 0
		.amdhsa_user_sgpr_queue_ptr 0
		.amdhsa_user_sgpr_kernarg_segment_ptr 1
		.amdhsa_user_sgpr_dispatch_id 0
		.amdhsa_user_sgpr_flat_scratch_init 0
		.amdhsa_user_sgpr_kernarg_preload_length 0
		.amdhsa_user_sgpr_kernarg_preload_offset 0
		.amdhsa_user_sgpr_private_segment_size 0
		.amdhsa_uses_dynamic_stack 0
		.amdhsa_system_sgpr_private_segment_wavefront_offset 0
		.amdhsa_system_sgpr_workgroup_id_x 1
		.amdhsa_system_sgpr_workgroup_id_y 0
		.amdhsa_system_sgpr_workgroup_id_z 0
		.amdhsa_system_sgpr_workgroup_info 0
		.amdhsa_system_vgpr_workitem_id 0
		.amdhsa_next_free_vgpr 6
		.amdhsa_next_free_sgpr 8
		.amdhsa_accum_offset 8
		.amdhsa_reserve_vcc 1
		.amdhsa_reserve_flat_scratch 0
		.amdhsa_float_round_mode_32 0
		.amdhsa_float_round_mode_16_64 0
		.amdhsa_float_denorm_mode_32 3
		.amdhsa_float_denorm_mode_16_64 3
		.amdhsa_dx10_clamp 1
		.amdhsa_ieee_mode 1
		.amdhsa_fp16_overflow 0
		.amdhsa_tg_split 0
		.amdhsa_exception_fp_ieee_invalid_op 0
		.amdhsa_exception_fp_denorm_src 0
		.amdhsa_exception_fp_ieee_div_zero 0
		.amdhsa_exception_fp_ieee_overflow 0
		.amdhsa_exception_fp_ieee_underflow 0
		.amdhsa_exception_fp_ieee_inexact 0
		.amdhsa_exception_int_div_zero 0
	.end_amdhsa_kernel
	.section	.text._Z18warp_reduce_kernelIiLj64ELj4EENSt9enable_ifIXsr10test_utilsE35device_test_enabled_for_warp_size_vIXT1_EEEvE4typeEPT_S4_,"axG",@progbits,_Z18warp_reduce_kernelIiLj64ELj4EENSt9enable_ifIXsr10test_utilsE35device_test_enabled_for_warp_size_vIXT1_EEEvE4typeEPT_S4_,comdat
.Lfunc_end59:
	.size	_Z18warp_reduce_kernelIiLj64ELj4EENSt9enable_ifIXsr10test_utilsE35device_test_enabled_for_warp_size_vIXT1_EEEvE4typeEPT_S4_, .Lfunc_end59-_Z18warp_reduce_kernelIiLj64ELj4EENSt9enable_ifIXsr10test_utilsE35device_test_enabled_for_warp_size_vIXT1_EEEvE4typeEPT_S4_
                                        ; -- End function
	.section	.AMDGPU.csdata,"",@progbits
; Kernel info:
; codeLenInByte = 192
; NumSgprs: 12
; NumVgprs: 6
; NumAgprs: 0
; TotalNumVgprs: 6
; ScratchSize: 0
; MemoryBound: 0
; FloatMode: 240
; IeeeMode: 1
; LDSByteSize: 0 bytes/workgroup (compile time only)
; SGPRBlocks: 1
; VGPRBlocks: 0
; NumSGPRsForWavesPerEU: 12
; NumVGPRsForWavesPerEU: 6
; AccumOffset: 8
; Occupancy: 8
; WaveLimiterHint : 0
; COMPUTE_PGM_RSRC2:SCRATCH_EN: 0
; COMPUTE_PGM_RSRC2:USER_SGPR: 6
; COMPUTE_PGM_RSRC2:TRAP_HANDLER: 0
; COMPUTE_PGM_RSRC2:TGID_X_EN: 1
; COMPUTE_PGM_RSRC2:TGID_Y_EN: 0
; COMPUTE_PGM_RSRC2:TGID_Z_EN: 0
; COMPUTE_PGM_RSRC2:TIDIG_COMP_CNT: 0
; COMPUTE_PGM_RSRC3_GFX90A:ACCUM_OFFSET: 1
; COMPUTE_PGM_RSRC3_GFX90A:TG_SPLIT: 0
	.section	.text._Z18warp_reduce_kernelIiLj32ELj2EENSt9enable_ifIXsr10test_utilsE35device_test_enabled_for_warp_size_vIXT1_EEEvE4typeEPT_S4_,"axG",@progbits,_Z18warp_reduce_kernelIiLj32ELj2EENSt9enable_ifIXsr10test_utilsE35device_test_enabled_for_warp_size_vIXT1_EEEvE4typeEPT_S4_,comdat
	.protected	_Z18warp_reduce_kernelIiLj32ELj2EENSt9enable_ifIXsr10test_utilsE35device_test_enabled_for_warp_size_vIXT1_EEEvE4typeEPT_S4_ ; -- Begin function _Z18warp_reduce_kernelIiLj32ELj2EENSt9enable_ifIXsr10test_utilsE35device_test_enabled_for_warp_size_vIXT1_EEEvE4typeEPT_S4_
	.globl	_Z18warp_reduce_kernelIiLj32ELj2EENSt9enable_ifIXsr10test_utilsE35device_test_enabled_for_warp_size_vIXT1_EEEvE4typeEPT_S4_
	.p2align	8
	.type	_Z18warp_reduce_kernelIiLj32ELj2EENSt9enable_ifIXsr10test_utilsE35device_test_enabled_for_warp_size_vIXT1_EEEvE4typeEPT_S4_,@function
_Z18warp_reduce_kernelIiLj32ELj2EENSt9enable_ifIXsr10test_utilsE35device_test_enabled_for_warp_size_vIXT1_EEEvE4typeEPT_S4_: ; @_Z18warp_reduce_kernelIiLj32ELj2EENSt9enable_ifIXsr10test_utilsE35device_test_enabled_for_warp_size_vIXT1_EEEvE4typeEPT_S4_
; %bb.0:
	s_load_dword s7, s[4:5], 0x1c
	s_load_dwordx4 s[0:3], s[4:5], 0x0
	v_mov_b32_e32 v3, 0
	s_waitcnt lgkmcnt(0)
	s_and_b32 s4, s7, 0xffff
	s_mul_i32 s6, s6, s4
	v_add_u32_e32 v2, s6, v0
	v_lshlrev_b64 v[4:5], 2, v[2:3]
	v_mov_b32_e32 v1, s1
	v_add_co_u32_e32 v4, vcc, s0, v4
	v_addc_co_u32_e32 v5, vcc, v1, v5, vcc
	global_load_dword v1, v[4:5], off
	v_mbcnt_lo_u32_b32 v4, -1, 0
	v_mbcnt_hi_u32_b32 v4, -1, v4
	v_lshl_or_b32 v4, v4, 2, 4
	v_and_b32_e32 v0, 1, v0
	v_cmp_eq_u32_e32 vcc, 0, v0
	s_waitcnt vmcnt(0)
	ds_bpermute_b32 v4, v4, v1
	s_and_saveexec_b64 s[0:1], vcc
	s_cbranch_execz .LBB60_2
; %bb.1:
	v_lshrrev_b32_e32 v2, 1, v2
	v_lshlrev_b64 v[2:3], 2, v[2:3]
	v_mov_b32_e32 v0, s3
	v_add_co_u32_e32 v2, vcc, s2, v2
	v_addc_co_u32_e32 v3, vcc, v0, v3, vcc
	s_waitcnt lgkmcnt(0)
	v_add_u32_e32 v0, v4, v1
	global_store_dword v[2:3], v0, off
.LBB60_2:
	s_endpgm
	.section	.rodata,"a",@progbits
	.p2align	6, 0x0
	.amdhsa_kernel _Z18warp_reduce_kernelIiLj32ELj2EENSt9enable_ifIXsr10test_utilsE35device_test_enabled_for_warp_size_vIXT1_EEEvE4typeEPT_S4_
		.amdhsa_group_segment_fixed_size 0
		.amdhsa_private_segment_fixed_size 0
		.amdhsa_kernarg_size 272
		.amdhsa_user_sgpr_count 6
		.amdhsa_user_sgpr_private_segment_buffer 1
		.amdhsa_user_sgpr_dispatch_ptr 0
		.amdhsa_user_sgpr_queue_ptr 0
		.amdhsa_user_sgpr_kernarg_segment_ptr 1
		.amdhsa_user_sgpr_dispatch_id 0
		.amdhsa_user_sgpr_flat_scratch_init 0
		.amdhsa_user_sgpr_kernarg_preload_length 0
		.amdhsa_user_sgpr_kernarg_preload_offset 0
		.amdhsa_user_sgpr_private_segment_size 0
		.amdhsa_uses_dynamic_stack 0
		.amdhsa_system_sgpr_private_segment_wavefront_offset 0
		.amdhsa_system_sgpr_workgroup_id_x 1
		.amdhsa_system_sgpr_workgroup_id_y 0
		.amdhsa_system_sgpr_workgroup_id_z 0
		.amdhsa_system_sgpr_workgroup_info 0
		.amdhsa_system_vgpr_workitem_id 0
		.amdhsa_next_free_vgpr 6
		.amdhsa_next_free_sgpr 8
		.amdhsa_accum_offset 8
		.amdhsa_reserve_vcc 1
		.amdhsa_reserve_flat_scratch 0
		.amdhsa_float_round_mode_32 0
		.amdhsa_float_round_mode_16_64 0
		.amdhsa_float_denorm_mode_32 3
		.amdhsa_float_denorm_mode_16_64 3
		.amdhsa_dx10_clamp 1
		.amdhsa_ieee_mode 1
		.amdhsa_fp16_overflow 0
		.amdhsa_tg_split 0
		.amdhsa_exception_fp_ieee_invalid_op 0
		.amdhsa_exception_fp_denorm_src 0
		.amdhsa_exception_fp_ieee_div_zero 0
		.amdhsa_exception_fp_ieee_overflow 0
		.amdhsa_exception_fp_ieee_underflow 0
		.amdhsa_exception_fp_ieee_inexact 0
		.amdhsa_exception_int_div_zero 0
	.end_amdhsa_kernel
	.section	.text._Z18warp_reduce_kernelIiLj32ELj2EENSt9enable_ifIXsr10test_utilsE35device_test_enabled_for_warp_size_vIXT1_EEEvE4typeEPT_S4_,"axG",@progbits,_Z18warp_reduce_kernelIiLj32ELj2EENSt9enable_ifIXsr10test_utilsE35device_test_enabled_for_warp_size_vIXT1_EEEvE4typeEPT_S4_,comdat
.Lfunc_end60:
	.size	_Z18warp_reduce_kernelIiLj32ELj2EENSt9enable_ifIXsr10test_utilsE35device_test_enabled_for_warp_size_vIXT1_EEEvE4typeEPT_S4_, .Lfunc_end60-_Z18warp_reduce_kernelIiLj32ELj2EENSt9enable_ifIXsr10test_utilsE35device_test_enabled_for_warp_size_vIXT1_EEEvE4typeEPT_S4_
                                        ; -- End function
	.section	.AMDGPU.csdata,"",@progbits
; Kernel info:
; codeLenInByte = 164
; NumSgprs: 12
; NumVgprs: 6
; NumAgprs: 0
; TotalNumVgprs: 6
; ScratchSize: 0
; MemoryBound: 0
; FloatMode: 240
; IeeeMode: 1
; LDSByteSize: 0 bytes/workgroup (compile time only)
; SGPRBlocks: 1
; VGPRBlocks: 0
; NumSGPRsForWavesPerEU: 12
; NumVGPRsForWavesPerEU: 6
; AccumOffset: 8
; Occupancy: 8
; WaveLimiterHint : 0
; COMPUTE_PGM_RSRC2:SCRATCH_EN: 0
; COMPUTE_PGM_RSRC2:USER_SGPR: 6
; COMPUTE_PGM_RSRC2:TRAP_HANDLER: 0
; COMPUTE_PGM_RSRC2:TGID_X_EN: 1
; COMPUTE_PGM_RSRC2:TGID_Y_EN: 0
; COMPUTE_PGM_RSRC2:TGID_Z_EN: 0
; COMPUTE_PGM_RSRC2:TIDIG_COMP_CNT: 0
; COMPUTE_PGM_RSRC3_GFX90A:ACCUM_OFFSET: 1
; COMPUTE_PGM_RSRC3_GFX90A:TG_SPLIT: 0
	.section	.text._Z18warp_reduce_kernelIiLj64ELj2EENSt9enable_ifIXsr10test_utilsE35device_test_enabled_for_warp_size_vIXT1_EEEvE4typeEPT_S4_,"axG",@progbits,_Z18warp_reduce_kernelIiLj64ELj2EENSt9enable_ifIXsr10test_utilsE35device_test_enabled_for_warp_size_vIXT1_EEEvE4typeEPT_S4_,comdat
	.protected	_Z18warp_reduce_kernelIiLj64ELj2EENSt9enable_ifIXsr10test_utilsE35device_test_enabled_for_warp_size_vIXT1_EEEvE4typeEPT_S4_ ; -- Begin function _Z18warp_reduce_kernelIiLj64ELj2EENSt9enable_ifIXsr10test_utilsE35device_test_enabled_for_warp_size_vIXT1_EEEvE4typeEPT_S4_
	.globl	_Z18warp_reduce_kernelIiLj64ELj2EENSt9enable_ifIXsr10test_utilsE35device_test_enabled_for_warp_size_vIXT1_EEEvE4typeEPT_S4_
	.p2align	8
	.type	_Z18warp_reduce_kernelIiLj64ELj2EENSt9enable_ifIXsr10test_utilsE35device_test_enabled_for_warp_size_vIXT1_EEEvE4typeEPT_S4_,@function
_Z18warp_reduce_kernelIiLj64ELj2EENSt9enable_ifIXsr10test_utilsE35device_test_enabled_for_warp_size_vIXT1_EEEvE4typeEPT_S4_: ; @_Z18warp_reduce_kernelIiLj64ELj2EENSt9enable_ifIXsr10test_utilsE35device_test_enabled_for_warp_size_vIXT1_EEEvE4typeEPT_S4_
; %bb.0:
	s_load_dword s7, s[4:5], 0x1c
	s_load_dwordx4 s[0:3], s[4:5], 0x0
	v_mov_b32_e32 v3, 0
	s_waitcnt lgkmcnt(0)
	s_and_b32 s4, s7, 0xffff
	s_mul_i32 s6, s6, s4
	v_add_u32_e32 v2, s6, v0
	v_lshlrev_b64 v[4:5], 2, v[2:3]
	v_mov_b32_e32 v1, s1
	v_add_co_u32_e32 v4, vcc, s0, v4
	v_addc_co_u32_e32 v5, vcc, v1, v5, vcc
	global_load_dword v1, v[4:5], off
	v_mbcnt_lo_u32_b32 v4, -1, 0
	v_mbcnt_hi_u32_b32 v4, -1, v4
	v_lshl_or_b32 v4, v4, 2, 4
	v_and_b32_e32 v0, 1, v0
	v_cmp_eq_u32_e32 vcc, 0, v0
	s_waitcnt vmcnt(0)
	ds_bpermute_b32 v4, v4, v1
	s_and_saveexec_b64 s[0:1], vcc
	s_cbranch_execz .LBB61_2
; %bb.1:
	v_lshrrev_b32_e32 v2, 1, v2
	v_lshlrev_b64 v[2:3], 2, v[2:3]
	v_mov_b32_e32 v0, s3
	v_add_co_u32_e32 v2, vcc, s2, v2
	v_addc_co_u32_e32 v3, vcc, v0, v3, vcc
	s_waitcnt lgkmcnt(0)
	v_add_u32_e32 v0, v4, v1
	global_store_dword v[2:3], v0, off
.LBB61_2:
	s_endpgm
	.section	.rodata,"a",@progbits
	.p2align	6, 0x0
	.amdhsa_kernel _Z18warp_reduce_kernelIiLj64ELj2EENSt9enable_ifIXsr10test_utilsE35device_test_enabled_for_warp_size_vIXT1_EEEvE4typeEPT_S4_
		.amdhsa_group_segment_fixed_size 0
		.amdhsa_private_segment_fixed_size 0
		.amdhsa_kernarg_size 272
		.amdhsa_user_sgpr_count 6
		.amdhsa_user_sgpr_private_segment_buffer 1
		.amdhsa_user_sgpr_dispatch_ptr 0
		.amdhsa_user_sgpr_queue_ptr 0
		.amdhsa_user_sgpr_kernarg_segment_ptr 1
		.amdhsa_user_sgpr_dispatch_id 0
		.amdhsa_user_sgpr_flat_scratch_init 0
		.amdhsa_user_sgpr_kernarg_preload_length 0
		.amdhsa_user_sgpr_kernarg_preload_offset 0
		.amdhsa_user_sgpr_private_segment_size 0
		.amdhsa_uses_dynamic_stack 0
		.amdhsa_system_sgpr_private_segment_wavefront_offset 0
		.amdhsa_system_sgpr_workgroup_id_x 1
		.amdhsa_system_sgpr_workgroup_id_y 0
		.amdhsa_system_sgpr_workgroup_id_z 0
		.amdhsa_system_sgpr_workgroup_info 0
		.amdhsa_system_vgpr_workitem_id 0
		.amdhsa_next_free_vgpr 6
		.amdhsa_next_free_sgpr 8
		.amdhsa_accum_offset 8
		.amdhsa_reserve_vcc 1
		.amdhsa_reserve_flat_scratch 0
		.amdhsa_float_round_mode_32 0
		.amdhsa_float_round_mode_16_64 0
		.amdhsa_float_denorm_mode_32 3
		.amdhsa_float_denorm_mode_16_64 3
		.amdhsa_dx10_clamp 1
		.amdhsa_ieee_mode 1
		.amdhsa_fp16_overflow 0
		.amdhsa_tg_split 0
		.amdhsa_exception_fp_ieee_invalid_op 0
		.amdhsa_exception_fp_denorm_src 0
		.amdhsa_exception_fp_ieee_div_zero 0
		.amdhsa_exception_fp_ieee_overflow 0
		.amdhsa_exception_fp_ieee_underflow 0
		.amdhsa_exception_fp_ieee_inexact 0
		.amdhsa_exception_int_div_zero 0
	.end_amdhsa_kernel
	.section	.text._Z18warp_reduce_kernelIiLj64ELj2EENSt9enable_ifIXsr10test_utilsE35device_test_enabled_for_warp_size_vIXT1_EEEvE4typeEPT_S4_,"axG",@progbits,_Z18warp_reduce_kernelIiLj64ELj2EENSt9enable_ifIXsr10test_utilsE35device_test_enabled_for_warp_size_vIXT1_EEEvE4typeEPT_S4_,comdat
.Lfunc_end61:
	.size	_Z18warp_reduce_kernelIiLj64ELj2EENSt9enable_ifIXsr10test_utilsE35device_test_enabled_for_warp_size_vIXT1_EEEvE4typeEPT_S4_, .Lfunc_end61-_Z18warp_reduce_kernelIiLj64ELj2EENSt9enable_ifIXsr10test_utilsE35device_test_enabled_for_warp_size_vIXT1_EEEvE4typeEPT_S4_
                                        ; -- End function
	.section	.AMDGPU.csdata,"",@progbits
; Kernel info:
; codeLenInByte = 164
; NumSgprs: 12
; NumVgprs: 6
; NumAgprs: 0
; TotalNumVgprs: 6
; ScratchSize: 0
; MemoryBound: 0
; FloatMode: 240
; IeeeMode: 1
; LDSByteSize: 0 bytes/workgroup (compile time only)
; SGPRBlocks: 1
; VGPRBlocks: 0
; NumSGPRsForWavesPerEU: 12
; NumVGPRsForWavesPerEU: 6
; AccumOffset: 8
; Occupancy: 8
; WaveLimiterHint : 0
; COMPUTE_PGM_RSRC2:SCRATCH_EN: 0
; COMPUTE_PGM_RSRC2:USER_SGPR: 6
; COMPUTE_PGM_RSRC2:TRAP_HANDLER: 0
; COMPUTE_PGM_RSRC2:TGID_X_EN: 1
; COMPUTE_PGM_RSRC2:TGID_Y_EN: 0
; COMPUTE_PGM_RSRC2:TGID_Z_EN: 0
; COMPUTE_PGM_RSRC2:TIDIG_COMP_CNT: 0
; COMPUTE_PGM_RSRC3_GFX90A:ACCUM_OFFSET: 1
; COMPUTE_PGM_RSRC3_GFX90A:TG_SPLIT: 0
	.section	.text._Z18warp_reduce_kernelIiLj32ELj1EENSt9enable_ifIXsr10test_utilsE35device_test_enabled_for_warp_size_vIXT1_EEEvE4typeEPT_S4_,"axG",@progbits,_Z18warp_reduce_kernelIiLj32ELj1EENSt9enable_ifIXsr10test_utilsE35device_test_enabled_for_warp_size_vIXT1_EEEvE4typeEPT_S4_,comdat
	.protected	_Z18warp_reduce_kernelIiLj32ELj1EENSt9enable_ifIXsr10test_utilsE35device_test_enabled_for_warp_size_vIXT1_EEEvE4typeEPT_S4_ ; -- Begin function _Z18warp_reduce_kernelIiLj32ELj1EENSt9enable_ifIXsr10test_utilsE35device_test_enabled_for_warp_size_vIXT1_EEEvE4typeEPT_S4_
	.globl	_Z18warp_reduce_kernelIiLj32ELj1EENSt9enable_ifIXsr10test_utilsE35device_test_enabled_for_warp_size_vIXT1_EEEvE4typeEPT_S4_
	.p2align	8
	.type	_Z18warp_reduce_kernelIiLj32ELj1EENSt9enable_ifIXsr10test_utilsE35device_test_enabled_for_warp_size_vIXT1_EEEvE4typeEPT_S4_,@function
_Z18warp_reduce_kernelIiLj32ELj1EENSt9enable_ifIXsr10test_utilsE35device_test_enabled_for_warp_size_vIXT1_EEEvE4typeEPT_S4_: ; @_Z18warp_reduce_kernelIiLj32ELj1EENSt9enable_ifIXsr10test_utilsE35device_test_enabled_for_warp_size_vIXT1_EEEvE4typeEPT_S4_
; %bb.0:
	s_load_dword s7, s[4:5], 0x1c
	s_load_dwordx4 s[0:3], s[4:5], 0x0
	v_mov_b32_e32 v1, 0
	s_waitcnt lgkmcnt(0)
	s_and_b32 s4, s7, 0xffff
	s_mul_i32 s6, s6, s4
	v_add_u32_e32 v0, s6, v0
	v_lshlrev_b64 v[0:1], 2, v[0:1]
	v_mov_b32_e32 v3, s1
	v_add_co_u32_e32 v2, vcc, s0, v0
	v_addc_co_u32_e32 v3, vcc, v3, v1, vcc
	global_load_dword v2, v[2:3], off
	v_mov_b32_e32 v3, s3
	v_add_co_u32_e32 v0, vcc, s2, v0
	v_addc_co_u32_e32 v1, vcc, v3, v1, vcc
	s_waitcnt vmcnt(0)
	global_store_dword v[0:1], v2, off
	s_endpgm
	.section	.rodata,"a",@progbits
	.p2align	6, 0x0
	.amdhsa_kernel _Z18warp_reduce_kernelIiLj32ELj1EENSt9enable_ifIXsr10test_utilsE35device_test_enabled_for_warp_size_vIXT1_EEEvE4typeEPT_S4_
		.amdhsa_group_segment_fixed_size 0
		.amdhsa_private_segment_fixed_size 0
		.amdhsa_kernarg_size 272
		.amdhsa_user_sgpr_count 6
		.amdhsa_user_sgpr_private_segment_buffer 1
		.amdhsa_user_sgpr_dispatch_ptr 0
		.amdhsa_user_sgpr_queue_ptr 0
		.amdhsa_user_sgpr_kernarg_segment_ptr 1
		.amdhsa_user_sgpr_dispatch_id 0
		.amdhsa_user_sgpr_flat_scratch_init 0
		.amdhsa_user_sgpr_kernarg_preload_length 0
		.amdhsa_user_sgpr_kernarg_preload_offset 0
		.amdhsa_user_sgpr_private_segment_size 0
		.amdhsa_uses_dynamic_stack 0
		.amdhsa_system_sgpr_private_segment_wavefront_offset 0
		.amdhsa_system_sgpr_workgroup_id_x 1
		.amdhsa_system_sgpr_workgroup_id_y 0
		.amdhsa_system_sgpr_workgroup_id_z 0
		.amdhsa_system_sgpr_workgroup_info 0
		.amdhsa_system_vgpr_workitem_id 0
		.amdhsa_next_free_vgpr 4
		.amdhsa_next_free_sgpr 8
		.amdhsa_accum_offset 4
		.amdhsa_reserve_vcc 1
		.amdhsa_reserve_flat_scratch 0
		.amdhsa_float_round_mode_32 0
		.amdhsa_float_round_mode_16_64 0
		.amdhsa_float_denorm_mode_32 3
		.amdhsa_float_denorm_mode_16_64 3
		.amdhsa_dx10_clamp 1
		.amdhsa_ieee_mode 1
		.amdhsa_fp16_overflow 0
		.amdhsa_tg_split 0
		.amdhsa_exception_fp_ieee_invalid_op 0
		.amdhsa_exception_fp_denorm_src 0
		.amdhsa_exception_fp_ieee_div_zero 0
		.amdhsa_exception_fp_ieee_overflow 0
		.amdhsa_exception_fp_ieee_underflow 0
		.amdhsa_exception_fp_ieee_inexact 0
		.amdhsa_exception_int_div_zero 0
	.end_amdhsa_kernel
	.section	.text._Z18warp_reduce_kernelIiLj32ELj1EENSt9enable_ifIXsr10test_utilsE35device_test_enabled_for_warp_size_vIXT1_EEEvE4typeEPT_S4_,"axG",@progbits,_Z18warp_reduce_kernelIiLj32ELj1EENSt9enable_ifIXsr10test_utilsE35device_test_enabled_for_warp_size_vIXT1_EEEvE4typeEPT_S4_,comdat
.Lfunc_end62:
	.size	_Z18warp_reduce_kernelIiLj32ELj1EENSt9enable_ifIXsr10test_utilsE35device_test_enabled_for_warp_size_vIXT1_EEEvE4typeEPT_S4_, .Lfunc_end62-_Z18warp_reduce_kernelIiLj32ELj1EENSt9enable_ifIXsr10test_utilsE35device_test_enabled_for_warp_size_vIXT1_EEEvE4typeEPT_S4_
                                        ; -- End function
	.section	.AMDGPU.csdata,"",@progbits
; Kernel info:
; codeLenInByte = 96
; NumSgprs: 12
; NumVgprs: 4
; NumAgprs: 0
; TotalNumVgprs: 4
; ScratchSize: 0
; MemoryBound: 0
; FloatMode: 240
; IeeeMode: 1
; LDSByteSize: 0 bytes/workgroup (compile time only)
; SGPRBlocks: 1
; VGPRBlocks: 0
; NumSGPRsForWavesPerEU: 12
; NumVGPRsForWavesPerEU: 4
; AccumOffset: 4
; Occupancy: 8
; WaveLimiterHint : 0
; COMPUTE_PGM_RSRC2:SCRATCH_EN: 0
; COMPUTE_PGM_RSRC2:USER_SGPR: 6
; COMPUTE_PGM_RSRC2:TRAP_HANDLER: 0
; COMPUTE_PGM_RSRC2:TGID_X_EN: 1
; COMPUTE_PGM_RSRC2:TGID_Y_EN: 0
; COMPUTE_PGM_RSRC2:TGID_Z_EN: 0
; COMPUTE_PGM_RSRC2:TIDIG_COMP_CNT: 0
; COMPUTE_PGM_RSRC3_GFX90A:ACCUM_OFFSET: 0
; COMPUTE_PGM_RSRC3_GFX90A:TG_SPLIT: 0
	.section	.text._Z18warp_reduce_kernelIiLj64ELj1EENSt9enable_ifIXsr10test_utilsE35device_test_enabled_for_warp_size_vIXT1_EEEvE4typeEPT_S4_,"axG",@progbits,_Z18warp_reduce_kernelIiLj64ELj1EENSt9enable_ifIXsr10test_utilsE35device_test_enabled_for_warp_size_vIXT1_EEEvE4typeEPT_S4_,comdat
	.protected	_Z18warp_reduce_kernelIiLj64ELj1EENSt9enable_ifIXsr10test_utilsE35device_test_enabled_for_warp_size_vIXT1_EEEvE4typeEPT_S4_ ; -- Begin function _Z18warp_reduce_kernelIiLj64ELj1EENSt9enable_ifIXsr10test_utilsE35device_test_enabled_for_warp_size_vIXT1_EEEvE4typeEPT_S4_
	.globl	_Z18warp_reduce_kernelIiLj64ELj1EENSt9enable_ifIXsr10test_utilsE35device_test_enabled_for_warp_size_vIXT1_EEEvE4typeEPT_S4_
	.p2align	8
	.type	_Z18warp_reduce_kernelIiLj64ELj1EENSt9enable_ifIXsr10test_utilsE35device_test_enabled_for_warp_size_vIXT1_EEEvE4typeEPT_S4_,@function
_Z18warp_reduce_kernelIiLj64ELj1EENSt9enable_ifIXsr10test_utilsE35device_test_enabled_for_warp_size_vIXT1_EEEvE4typeEPT_S4_: ; @_Z18warp_reduce_kernelIiLj64ELj1EENSt9enable_ifIXsr10test_utilsE35device_test_enabled_for_warp_size_vIXT1_EEEvE4typeEPT_S4_
; %bb.0:
	s_load_dword s7, s[4:5], 0x1c
	s_load_dwordx4 s[0:3], s[4:5], 0x0
	v_mov_b32_e32 v1, 0
	s_waitcnt lgkmcnt(0)
	s_and_b32 s4, s7, 0xffff
	s_mul_i32 s6, s6, s4
	v_add_u32_e32 v0, s6, v0
	v_lshlrev_b64 v[0:1], 2, v[0:1]
	v_mov_b32_e32 v3, s1
	v_add_co_u32_e32 v2, vcc, s0, v0
	v_addc_co_u32_e32 v3, vcc, v3, v1, vcc
	global_load_dword v2, v[2:3], off
	v_mov_b32_e32 v3, s3
	v_add_co_u32_e32 v0, vcc, s2, v0
	v_addc_co_u32_e32 v1, vcc, v3, v1, vcc
	s_waitcnt vmcnt(0)
	global_store_dword v[0:1], v2, off
	s_endpgm
	.section	.rodata,"a",@progbits
	.p2align	6, 0x0
	.amdhsa_kernel _Z18warp_reduce_kernelIiLj64ELj1EENSt9enable_ifIXsr10test_utilsE35device_test_enabled_for_warp_size_vIXT1_EEEvE4typeEPT_S4_
		.amdhsa_group_segment_fixed_size 0
		.amdhsa_private_segment_fixed_size 0
		.amdhsa_kernarg_size 272
		.amdhsa_user_sgpr_count 6
		.amdhsa_user_sgpr_private_segment_buffer 1
		.amdhsa_user_sgpr_dispatch_ptr 0
		.amdhsa_user_sgpr_queue_ptr 0
		.amdhsa_user_sgpr_kernarg_segment_ptr 1
		.amdhsa_user_sgpr_dispatch_id 0
		.amdhsa_user_sgpr_flat_scratch_init 0
		.amdhsa_user_sgpr_kernarg_preload_length 0
		.amdhsa_user_sgpr_kernarg_preload_offset 0
		.amdhsa_user_sgpr_private_segment_size 0
		.amdhsa_uses_dynamic_stack 0
		.amdhsa_system_sgpr_private_segment_wavefront_offset 0
		.amdhsa_system_sgpr_workgroup_id_x 1
		.amdhsa_system_sgpr_workgroup_id_y 0
		.amdhsa_system_sgpr_workgroup_id_z 0
		.amdhsa_system_sgpr_workgroup_info 0
		.amdhsa_system_vgpr_workitem_id 0
		.amdhsa_next_free_vgpr 4
		.amdhsa_next_free_sgpr 8
		.amdhsa_accum_offset 4
		.amdhsa_reserve_vcc 1
		.amdhsa_reserve_flat_scratch 0
		.amdhsa_float_round_mode_32 0
		.amdhsa_float_round_mode_16_64 0
		.amdhsa_float_denorm_mode_32 3
		.amdhsa_float_denorm_mode_16_64 3
		.amdhsa_dx10_clamp 1
		.amdhsa_ieee_mode 1
		.amdhsa_fp16_overflow 0
		.amdhsa_tg_split 0
		.amdhsa_exception_fp_ieee_invalid_op 0
		.amdhsa_exception_fp_denorm_src 0
		.amdhsa_exception_fp_ieee_div_zero 0
		.amdhsa_exception_fp_ieee_overflow 0
		.amdhsa_exception_fp_ieee_underflow 0
		.amdhsa_exception_fp_ieee_inexact 0
		.amdhsa_exception_int_div_zero 0
	.end_amdhsa_kernel
	.section	.text._Z18warp_reduce_kernelIiLj64ELj1EENSt9enable_ifIXsr10test_utilsE35device_test_enabled_for_warp_size_vIXT1_EEEvE4typeEPT_S4_,"axG",@progbits,_Z18warp_reduce_kernelIiLj64ELj1EENSt9enable_ifIXsr10test_utilsE35device_test_enabled_for_warp_size_vIXT1_EEEvE4typeEPT_S4_,comdat
.Lfunc_end63:
	.size	_Z18warp_reduce_kernelIiLj64ELj1EENSt9enable_ifIXsr10test_utilsE35device_test_enabled_for_warp_size_vIXT1_EEEvE4typeEPT_S4_, .Lfunc_end63-_Z18warp_reduce_kernelIiLj64ELj1EENSt9enable_ifIXsr10test_utilsE35device_test_enabled_for_warp_size_vIXT1_EEEvE4typeEPT_S4_
                                        ; -- End function
	.section	.AMDGPU.csdata,"",@progbits
; Kernel info:
; codeLenInByte = 96
; NumSgprs: 12
; NumVgprs: 4
; NumAgprs: 0
; TotalNumVgprs: 4
; ScratchSize: 0
; MemoryBound: 0
; FloatMode: 240
; IeeeMode: 1
; LDSByteSize: 0 bytes/workgroup (compile time only)
; SGPRBlocks: 1
; VGPRBlocks: 0
; NumSGPRsForWavesPerEU: 12
; NumVGPRsForWavesPerEU: 4
; AccumOffset: 4
; Occupancy: 8
; WaveLimiterHint : 0
; COMPUTE_PGM_RSRC2:SCRATCH_EN: 0
; COMPUTE_PGM_RSRC2:USER_SGPR: 6
; COMPUTE_PGM_RSRC2:TRAP_HANDLER: 0
; COMPUTE_PGM_RSRC2:TGID_X_EN: 1
; COMPUTE_PGM_RSRC2:TGID_Y_EN: 0
; COMPUTE_PGM_RSRC2:TGID_Z_EN: 0
; COMPUTE_PGM_RSRC2:TIDIG_COMP_CNT: 0
; COMPUTE_PGM_RSRC3_GFX90A:ACCUM_OFFSET: 0
; COMPUTE_PGM_RSRC3_GFX90A:TG_SPLIT: 0
	.section	.text._Z24warp_reduce_valid_kernelIfLj1ELj61EENSt9enable_ifIXsr10test_utilsE35device_test_enabled_for_warp_size_vIXT1_EEEvE4typeEPT_S4_i,"axG",@progbits,_Z24warp_reduce_valid_kernelIfLj1ELj61EENSt9enable_ifIXsr10test_utilsE35device_test_enabled_for_warp_size_vIXT1_EEEvE4typeEPT_S4_i,comdat
	.protected	_Z24warp_reduce_valid_kernelIfLj1ELj61EENSt9enable_ifIXsr10test_utilsE35device_test_enabled_for_warp_size_vIXT1_EEEvE4typeEPT_S4_i ; -- Begin function _Z24warp_reduce_valid_kernelIfLj1ELj61EENSt9enable_ifIXsr10test_utilsE35device_test_enabled_for_warp_size_vIXT1_EEEvE4typeEPT_S4_i
	.globl	_Z24warp_reduce_valid_kernelIfLj1ELj61EENSt9enable_ifIXsr10test_utilsE35device_test_enabled_for_warp_size_vIXT1_EEEvE4typeEPT_S4_i
	.p2align	8
	.type	_Z24warp_reduce_valid_kernelIfLj1ELj61EENSt9enable_ifIXsr10test_utilsE35device_test_enabled_for_warp_size_vIXT1_EEEvE4typeEPT_S4_i,@function
_Z24warp_reduce_valid_kernelIfLj1ELj61EENSt9enable_ifIXsr10test_utilsE35device_test_enabled_for_warp_size_vIXT1_EEEvE4typeEPT_S4_i: ; @_Z24warp_reduce_valid_kernelIfLj1ELj61EENSt9enable_ifIXsr10test_utilsE35device_test_enabled_for_warp_size_vIXT1_EEEvE4typeEPT_S4_i
; %bb.0:
	s_load_dword s8, s[4:5], 0x24
	s_load_dwordx4 s[0:3], s[4:5], 0x0
	s_load_dword s7, s[4:5], 0x10
	s_mov_b32 s5, 0
	v_mbcnt_lo_u32_b32 v0, -1, 0
	s_waitcnt lgkmcnt(0)
	s_and_b32 s4, s8, 0xffff
	s_mul_i32 s4, s6, s4
	s_lshl_b64 s[8:9], s[4:5], 2
	s_add_u32 s0, s0, s8
	s_addc_u32 s1, s1, s9
	s_load_dword s6, s[0:1], 0x0
	v_mbcnt_hi_u32_b32 v0, -1, v0
	s_mov_b32 s0, 0x4325c54
	v_mul_hi_u32 v1, v0, s0
	v_mul_u32_u24_e32 v1, 61, v1
	v_sub_u32_e32 v1, v0, v1
	v_lshlrev_b32_e32 v0, 2, v1
	s_waitcnt lgkmcnt(0)
	v_mov_b32_e32 v2, s6
	ds_write_b32 v0, v2
	v_add_u32_e32 v2, 32, v1
	v_cmp_gt_u32_e32 vcc, 29, v1
	v_cmp_gt_u32_e64 s[0:1], s7, v2
	s_and_b64 s[0:1], vcc, s[0:1]
	v_readfirstlane_b32 s5, v1
	v_cndmask_b32_e64 v1, 0, 1, s[0:1]
	v_cmp_ne_u32_e32 vcc, 1, v1
	s_and_b64 s[0:1], vcc, exec
	; wave barrier
	s_cbranch_scc1 .LBB64_2
; %bb.1:
	ds_read2_b32 v[2:3], v0 offset1:32
	s_waitcnt lgkmcnt(0)
	v_add_f32_e32 v1, v2, v3
	s_branch .LBB64_3
.LBB64_2:
	v_mov_b32_e32 v1, s6
.LBB64_3:
	s_and_b64 vcc, exec, vcc
	; wave barrier
	s_cbranch_vccnz .LBB64_5
; %bb.4:
	ds_write_b32 v0, v1
.LBB64_5:
	s_add_i32 s6, s5, 16
	s_cmp_lt_u32 s5, 16
	s_cselect_b64 s[0:1], -1, 0
	s_cmp_lt_u32 s6, s7
	s_cselect_b64 s[8:9], -1, 0
	s_and_b64 s[8:9], s[0:1], s[8:9]
	v_cndmask_b32_e64 v2, 0, 1, s[8:9]
	v_cmp_ne_u32_e64 s[0:1], 1, v2
	s_andn2_b64 vcc, exec, s[8:9]
	; wave barrier
	s_cbranch_vccnz .LBB64_7
; %bb.6:
	ds_read2_b32 v[2:3], v0 offset1:16
	s_waitcnt lgkmcnt(0)
	v_add_f32_e32 v1, v2, v3
.LBB64_7:
	s_and_b64 vcc, exec, s[0:1]
	; wave barrier
	s_cbranch_vccnz .LBB64_9
; %bb.8:
	ds_write_b32 v0, v1
.LBB64_9:
	s_add_i32 s6, s5, 8
	s_cmp_lt_u32 s5, 8
	s_cselect_b64 s[0:1], -1, 0
	s_cmp_lt_u32 s6, s7
	s_cselect_b64 s[8:9], -1, 0
	s_and_b64 s[8:9], s[0:1], s[8:9]
	v_cndmask_b32_e64 v2, 0, 1, s[8:9]
	v_cmp_ne_u32_e64 s[0:1], 1, v2
	s_andn2_b64 vcc, exec, s[8:9]
	; wave barrier
	s_cbranch_vccnz .LBB64_11
; %bb.10:
	ds_read2_b32 v[2:3], v0 offset1:8
	s_waitcnt lgkmcnt(0)
	v_add_f32_e32 v1, v2, v3
.LBB64_11:
	s_and_b64 vcc, exec, s[0:1]
	;; [unrolled: 22-line block ×4, first 2 shown]
	; wave barrier
	s_cbranch_vccnz .LBB64_21
; %bb.20:
	ds_write_b32 v0, v1
.LBB64_21:
	s_add_i32 s6, s5, 1
	s_cmp_eq_u32 s5, 0
	s_cselect_b64 s[0:1], -1, 0
	s_cmp_lt_u32 s6, s7
	s_cselect_b64 s[6:7], -1, 0
	s_and_b64 s[6:7], s[0:1], s[6:7]
	v_cndmask_b32_e64 v2, 0, 1, s[6:7]
	v_cmp_ne_u32_e64 s[0:1], 1, v2
	s_andn2_b64 vcc, exec, s[6:7]
	; wave barrier
	s_cbranch_vccnz .LBB64_23
; %bb.22:
	v_mov_b32_e32 v1, 0
	ds_read_b32 v2, v0
	ds_read_b32 v1, v1 offset:4
	s_waitcnt lgkmcnt(0)
	v_add_f32_e32 v1, v2, v1
.LBB64_23:
	s_and_b64 vcc, exec, s[0:1]
	; wave barrier
	s_cbranch_vccnz .LBB64_25
; %bb.24:
	ds_write_b32 v0, v1
.LBB64_25:
	; wave barrier
	s_branch .LBB64_27
; %bb.26:
	s_endpgm
.LBB64_27:
	s_mul_hi_u32 s0, s4, 0x4325c53f
	s_lshr_b32 s0, s0, 2
	s_and_b32 s0, s0, 0x1ffffffc
	v_mov_b32_e32 v0, s0
	global_store_dword v0, v1, s[2:3]
	s_endpgm
	.section	.rodata,"a",@progbits
	.p2align	6, 0x0
	.amdhsa_kernel _Z24warp_reduce_valid_kernelIfLj1ELj61EENSt9enable_ifIXsr10test_utilsE35device_test_enabled_for_warp_size_vIXT1_EEEvE4typeEPT_S4_i
		.amdhsa_group_segment_fixed_size 244
		.amdhsa_private_segment_fixed_size 0
		.amdhsa_kernarg_size 280
		.amdhsa_user_sgpr_count 6
		.amdhsa_user_sgpr_private_segment_buffer 1
		.amdhsa_user_sgpr_dispatch_ptr 0
		.amdhsa_user_sgpr_queue_ptr 0
		.amdhsa_user_sgpr_kernarg_segment_ptr 1
		.amdhsa_user_sgpr_dispatch_id 0
		.amdhsa_user_sgpr_flat_scratch_init 0
		.amdhsa_user_sgpr_kernarg_preload_length 0
		.amdhsa_user_sgpr_kernarg_preload_offset 0
		.amdhsa_user_sgpr_private_segment_size 0
		.amdhsa_uses_dynamic_stack 0
		.amdhsa_system_sgpr_private_segment_wavefront_offset 0
		.amdhsa_system_sgpr_workgroup_id_x 1
		.amdhsa_system_sgpr_workgroup_id_y 0
		.amdhsa_system_sgpr_workgroup_id_z 0
		.amdhsa_system_sgpr_workgroup_info 0
		.amdhsa_system_vgpr_workitem_id 0
		.amdhsa_next_free_vgpr 4
		.amdhsa_next_free_sgpr 10
		.amdhsa_accum_offset 4
		.amdhsa_reserve_vcc 1
		.amdhsa_reserve_flat_scratch 0
		.amdhsa_float_round_mode_32 0
		.amdhsa_float_round_mode_16_64 0
		.amdhsa_float_denorm_mode_32 3
		.amdhsa_float_denorm_mode_16_64 3
		.amdhsa_dx10_clamp 1
		.amdhsa_ieee_mode 1
		.amdhsa_fp16_overflow 0
		.amdhsa_tg_split 0
		.amdhsa_exception_fp_ieee_invalid_op 0
		.amdhsa_exception_fp_denorm_src 0
		.amdhsa_exception_fp_ieee_div_zero 0
		.amdhsa_exception_fp_ieee_overflow 0
		.amdhsa_exception_fp_ieee_underflow 0
		.amdhsa_exception_fp_ieee_inexact 0
		.amdhsa_exception_int_div_zero 0
	.end_amdhsa_kernel
	.section	.text._Z24warp_reduce_valid_kernelIfLj1ELj61EENSt9enable_ifIXsr10test_utilsE35device_test_enabled_for_warp_size_vIXT1_EEEvE4typeEPT_S4_i,"axG",@progbits,_Z24warp_reduce_valid_kernelIfLj1ELj61EENSt9enable_ifIXsr10test_utilsE35device_test_enabled_for_warp_size_vIXT1_EEEvE4typeEPT_S4_i,comdat
.Lfunc_end64:
	.size	_Z24warp_reduce_valid_kernelIfLj1ELj61EENSt9enable_ifIXsr10test_utilsE35device_test_enabled_for_warp_size_vIXT1_EEEvE4typeEPT_S4_i, .Lfunc_end64-_Z24warp_reduce_valid_kernelIfLj1ELj61EENSt9enable_ifIXsr10test_utilsE35device_test_enabled_for_warp_size_vIXT1_EEEvE4typeEPT_S4_i
                                        ; -- End function
	.section	.AMDGPU.csdata,"",@progbits
; Kernel info:
; codeLenInByte = 664
; NumSgprs: 14
; NumVgprs: 4
; NumAgprs: 0
; TotalNumVgprs: 4
; ScratchSize: 0
; MemoryBound: 0
; FloatMode: 240
; IeeeMode: 1
; LDSByteSize: 244 bytes/workgroup (compile time only)
; SGPRBlocks: 1
; VGPRBlocks: 0
; NumSGPRsForWavesPerEU: 14
; NumVGPRsForWavesPerEU: 4
; AccumOffset: 4
; Occupancy: 8
; WaveLimiterHint : 0
; COMPUTE_PGM_RSRC2:SCRATCH_EN: 0
; COMPUTE_PGM_RSRC2:USER_SGPR: 6
; COMPUTE_PGM_RSRC2:TRAP_HANDLER: 0
; COMPUTE_PGM_RSRC2:TGID_X_EN: 1
; COMPUTE_PGM_RSRC2:TGID_Y_EN: 0
; COMPUTE_PGM_RSRC2:TGID_Z_EN: 0
; COMPUTE_PGM_RSRC2:TIDIG_COMP_CNT: 0
; COMPUTE_PGM_RSRC3_GFX90A:ACCUM_OFFSET: 0
; COMPUTE_PGM_RSRC3_GFX90A:TG_SPLIT: 0
	.section	.text._Z24warp_reduce_valid_kernelIfLj61ELj61EENSt9enable_ifIXsr10test_utilsE35device_test_enabled_for_warp_size_vIXT1_EEEvE4typeEPT_S4_i,"axG",@progbits,_Z24warp_reduce_valid_kernelIfLj61ELj61EENSt9enable_ifIXsr10test_utilsE35device_test_enabled_for_warp_size_vIXT1_EEEvE4typeEPT_S4_i,comdat
	.protected	_Z24warp_reduce_valid_kernelIfLj61ELj61EENSt9enable_ifIXsr10test_utilsE35device_test_enabled_for_warp_size_vIXT1_EEEvE4typeEPT_S4_i ; -- Begin function _Z24warp_reduce_valid_kernelIfLj61ELj61EENSt9enable_ifIXsr10test_utilsE35device_test_enabled_for_warp_size_vIXT1_EEEvE4typeEPT_S4_i
	.globl	_Z24warp_reduce_valid_kernelIfLj61ELj61EENSt9enable_ifIXsr10test_utilsE35device_test_enabled_for_warp_size_vIXT1_EEEvE4typeEPT_S4_i
	.p2align	8
	.type	_Z24warp_reduce_valid_kernelIfLj61ELj61EENSt9enable_ifIXsr10test_utilsE35device_test_enabled_for_warp_size_vIXT1_EEEvE4typeEPT_S4_i,@function
_Z24warp_reduce_valid_kernelIfLj61ELj61EENSt9enable_ifIXsr10test_utilsE35device_test_enabled_for_warp_size_vIXT1_EEEvE4typeEPT_S4_i: ; @_Z24warp_reduce_valid_kernelIfLj61ELj61EENSt9enable_ifIXsr10test_utilsE35device_test_enabled_for_warp_size_vIXT1_EEEvE4typeEPT_S4_i
; %bb.0:
	s_load_dword s8, s[4:5], 0x24
	s_load_dwordx4 s[0:3], s[4:5], 0x0
	s_load_dword s7, s[4:5], 0x10
	v_mov_b32_e32 v3, 0
	s_waitcnt lgkmcnt(0)
	s_and_b32 s4, s8, 0xffff
	s_mul_i32 s6, s6, s4
	v_add_u32_e32 v2, s6, v0
	v_lshlrev_b64 v[4:5], 2, v[2:3]
	v_mov_b32_e32 v1, s1
	v_add_co_u32_e32 v4, vcc, s0, v4
	v_addc_co_u32_e32 v5, vcc, v1, v5, vcc
	global_load_dword v1, v[4:5], off
	v_mbcnt_lo_u32_b32 v3, -1, 0
	s_mov_b32 s1, 0x4325c54
	v_mul_u32_u24_e32 v4, 0x433, v0
	v_mbcnt_hi_u32_b32 v5, -1, v3
	v_lshrrev_b32_e32 v3, 16, v4
	v_mul_hi_u32 v4, v5, s1
	v_mul_u32_u24_e32 v4, 61, v4
	v_sub_u32_e32 v5, v5, v4
	s_movk_i32 s0, 0xf4
	v_lshlrev_b32_e32 v4, 2, v5
	v_add_u32_e32 v6, 32, v5
	v_cmp_gt_u32_e32 vcc, 29, v5
	v_mad_u32_u24 v4, v3, s0, v4
	v_cmp_gt_u32_e64 s[0:1], s7, v6
	s_and_b64 s[0:1], vcc, s[0:1]
	s_waitcnt vmcnt(0)
	ds_write_b32 v4, v1
	; wave barrier
	s_and_saveexec_b64 s[4:5], s[0:1]
	s_cbranch_execz .LBB65_2
; %bb.1:
	ds_read2_b32 v[6:7], v4 offset1:32
	s_waitcnt lgkmcnt(0)
	v_add_f32_e32 v1, v6, v7
.LBB65_2:
	s_or_b64 exec, exec, s[4:5]
	; wave barrier
	s_and_saveexec_b64 s[4:5], s[0:1]
	s_cbranch_execz .LBB65_4
; %bb.3:
	ds_write_b32 v4, v1
.LBB65_4:
	s_or_b64 exec, exec, s[4:5]
	v_add_u32_e32 v6, 16, v5
	v_cmp_gt_u32_e32 vcc, 16, v5
	v_cmp_gt_u32_e64 s[0:1], s7, v6
	s_and_b64 s[0:1], vcc, s[0:1]
	; wave barrier
	s_and_saveexec_b64 s[4:5], s[0:1]
	s_cbranch_execz .LBB65_6
; %bb.5:
	ds_read2_b32 v[6:7], v4 offset1:16
	s_waitcnt lgkmcnt(0)
	v_add_f32_e32 v1, v6, v7
.LBB65_6:
	s_or_b64 exec, exec, s[4:5]
	; wave barrier
	s_and_saveexec_b64 s[4:5], s[0:1]
	s_cbranch_execz .LBB65_8
; %bb.7:
	ds_write_b32 v4, v1
.LBB65_8:
	s_or_b64 exec, exec, s[4:5]
	v_add_u32_e32 v6, 8, v5
	v_cmp_gt_u32_e32 vcc, 8, v5
	v_cmp_gt_u32_e64 s[0:1], s7, v6
	s_and_b64 s[0:1], vcc, s[0:1]
	;; [unrolled: 20-line block ×4, first 2 shown]
	; wave barrier
	s_and_saveexec_b64 s[4:5], s[0:1]
	s_cbranch_execz .LBB65_18
; %bb.17:
	ds_read2_b32 v[6:7], v4 offset1:2
	s_waitcnt lgkmcnt(0)
	v_add_f32_e32 v1, v6, v7
.LBB65_18:
	s_or_b64 exec, exec, s[4:5]
	; wave barrier
	s_and_saveexec_b64 s[4:5], s[0:1]
	s_cbranch_execz .LBB65_20
; %bb.19:
	ds_write_b32 v4, v1
.LBB65_20:
	s_or_b64 exec, exec, s[4:5]
	v_add_u32_e32 v6, 1, v5
	v_cmp_eq_u32_e32 vcc, 0, v5
	v_cmp_gt_u32_e64 s[0:1], s7, v6
	s_and_b64 s[0:1], vcc, s[0:1]
	; wave barrier
	s_and_saveexec_b64 s[4:5], s[0:1]
	s_cbranch_execz .LBB65_22
; %bb.21:
	v_mul_u32_u24_e32 v1, 0xf4, v3
	ds_read_b32 v5, v4
	ds_read_b32 v1, v1 offset:4
	s_waitcnt lgkmcnt(0)
	v_add_f32_e32 v1, v5, v1
.LBB65_22:
	s_or_b64 exec, exec, s[4:5]
	; wave barrier
	s_and_saveexec_b64 s[4:5], s[0:1]
	s_cbranch_execz .LBB65_24
; %bb.23:
	ds_write_b32 v4, v1
.LBB65_24:
	s_or_b64 exec, exec, s[4:5]
	v_mul_lo_u16_e32 v3, 61, v3
	v_sub_u16_e32 v0, v0, v3
	v_cmp_eq_u16_e32 vcc, 0, v0
	; wave barrier
	s_and_saveexec_b64 s[0:1], vcc
	s_cbranch_execz .LBB65_26
; %bb.25:
	s_mov_b32 s0, 0x4325c53f
	v_mul_hi_u32 v0, v2, s0
	v_lshrrev_b32_e32 v0, 2, v0
	v_and_b32_e32 v0, 0x1ffffffc, v0
	global_store_dword v0, v1, s[2:3]
.LBB65_26:
	s_endpgm
	.section	.rodata,"a",@progbits
	.p2align	6, 0x0
	.amdhsa_kernel _Z24warp_reduce_valid_kernelIfLj61ELj61EENSt9enable_ifIXsr10test_utilsE35device_test_enabled_for_warp_size_vIXT1_EEEvE4typeEPT_S4_i
		.amdhsa_group_segment_fixed_size 244
		.amdhsa_private_segment_fixed_size 0
		.amdhsa_kernarg_size 280
		.amdhsa_user_sgpr_count 6
		.amdhsa_user_sgpr_private_segment_buffer 1
		.amdhsa_user_sgpr_dispatch_ptr 0
		.amdhsa_user_sgpr_queue_ptr 0
		.amdhsa_user_sgpr_kernarg_segment_ptr 1
		.amdhsa_user_sgpr_dispatch_id 0
		.amdhsa_user_sgpr_flat_scratch_init 0
		.amdhsa_user_sgpr_kernarg_preload_length 0
		.amdhsa_user_sgpr_kernarg_preload_offset 0
		.amdhsa_user_sgpr_private_segment_size 0
		.amdhsa_uses_dynamic_stack 0
		.amdhsa_system_sgpr_private_segment_wavefront_offset 0
		.amdhsa_system_sgpr_workgroup_id_x 1
		.amdhsa_system_sgpr_workgroup_id_y 0
		.amdhsa_system_sgpr_workgroup_id_z 0
		.amdhsa_system_sgpr_workgroup_info 0
		.amdhsa_system_vgpr_workitem_id 0
		.amdhsa_next_free_vgpr 8
		.amdhsa_next_free_sgpr 9
		.amdhsa_accum_offset 8
		.amdhsa_reserve_vcc 1
		.amdhsa_reserve_flat_scratch 0
		.amdhsa_float_round_mode_32 0
		.amdhsa_float_round_mode_16_64 0
		.amdhsa_float_denorm_mode_32 3
		.amdhsa_float_denorm_mode_16_64 3
		.amdhsa_dx10_clamp 1
		.amdhsa_ieee_mode 1
		.amdhsa_fp16_overflow 0
		.amdhsa_tg_split 0
		.amdhsa_exception_fp_ieee_invalid_op 0
		.amdhsa_exception_fp_denorm_src 0
		.amdhsa_exception_fp_ieee_div_zero 0
		.amdhsa_exception_fp_ieee_overflow 0
		.amdhsa_exception_fp_ieee_underflow 0
		.amdhsa_exception_fp_ieee_inexact 0
		.amdhsa_exception_int_div_zero 0
	.end_amdhsa_kernel
	.section	.text._Z24warp_reduce_valid_kernelIfLj61ELj61EENSt9enable_ifIXsr10test_utilsE35device_test_enabled_for_warp_size_vIXT1_EEEvE4typeEPT_S4_i,"axG",@progbits,_Z24warp_reduce_valid_kernelIfLj61ELj61EENSt9enable_ifIXsr10test_utilsE35device_test_enabled_for_warp_size_vIXT1_EEEvE4typeEPT_S4_i,comdat
.Lfunc_end65:
	.size	_Z24warp_reduce_valid_kernelIfLj61ELj61EENSt9enable_ifIXsr10test_utilsE35device_test_enabled_for_warp_size_vIXT1_EEEvE4typeEPT_S4_i, .Lfunc_end65-_Z24warp_reduce_valid_kernelIfLj61ELj61EENSt9enable_ifIXsr10test_utilsE35device_test_enabled_for_warp_size_vIXT1_EEEvE4typeEPT_S4_i
                                        ; -- End function
	.section	.AMDGPU.csdata,"",@progbits
; Kernel info:
; codeLenInByte = 640
; NumSgprs: 13
; NumVgprs: 8
; NumAgprs: 0
; TotalNumVgprs: 8
; ScratchSize: 0
; MemoryBound: 0
; FloatMode: 240
; IeeeMode: 1
; LDSByteSize: 244 bytes/workgroup (compile time only)
; SGPRBlocks: 1
; VGPRBlocks: 0
; NumSGPRsForWavesPerEU: 13
; NumVGPRsForWavesPerEU: 8
; AccumOffset: 8
; Occupancy: 8
; WaveLimiterHint : 0
; COMPUTE_PGM_RSRC2:SCRATCH_EN: 0
; COMPUTE_PGM_RSRC2:USER_SGPR: 6
; COMPUTE_PGM_RSRC2:TRAP_HANDLER: 0
; COMPUTE_PGM_RSRC2:TGID_X_EN: 1
; COMPUTE_PGM_RSRC2:TGID_Y_EN: 0
; COMPUTE_PGM_RSRC2:TGID_Z_EN: 0
; COMPUTE_PGM_RSRC2:TIDIG_COMP_CNT: 0
; COMPUTE_PGM_RSRC3_GFX90A:ACCUM_OFFSET: 1
; COMPUTE_PGM_RSRC3_GFX90A:TG_SPLIT: 0
	.section	.text._Z24warp_reduce_valid_kernelIfLj1ELj37EENSt9enable_ifIXsr10test_utilsE35device_test_enabled_for_warp_size_vIXT1_EEEvE4typeEPT_S4_i,"axG",@progbits,_Z24warp_reduce_valid_kernelIfLj1ELj37EENSt9enable_ifIXsr10test_utilsE35device_test_enabled_for_warp_size_vIXT1_EEEvE4typeEPT_S4_i,comdat
	.protected	_Z24warp_reduce_valid_kernelIfLj1ELj37EENSt9enable_ifIXsr10test_utilsE35device_test_enabled_for_warp_size_vIXT1_EEEvE4typeEPT_S4_i ; -- Begin function _Z24warp_reduce_valid_kernelIfLj1ELj37EENSt9enable_ifIXsr10test_utilsE35device_test_enabled_for_warp_size_vIXT1_EEEvE4typeEPT_S4_i
	.globl	_Z24warp_reduce_valid_kernelIfLj1ELj37EENSt9enable_ifIXsr10test_utilsE35device_test_enabled_for_warp_size_vIXT1_EEEvE4typeEPT_S4_i
	.p2align	8
	.type	_Z24warp_reduce_valid_kernelIfLj1ELj37EENSt9enable_ifIXsr10test_utilsE35device_test_enabled_for_warp_size_vIXT1_EEEvE4typeEPT_S4_i,@function
_Z24warp_reduce_valid_kernelIfLj1ELj37EENSt9enable_ifIXsr10test_utilsE35device_test_enabled_for_warp_size_vIXT1_EEEvE4typeEPT_S4_i: ; @_Z24warp_reduce_valid_kernelIfLj1ELj37EENSt9enable_ifIXsr10test_utilsE35device_test_enabled_for_warp_size_vIXT1_EEEvE4typeEPT_S4_i
; %bb.0:
	s_load_dword s8, s[4:5], 0x24
	s_load_dwordx4 s[0:3], s[4:5], 0x0
	s_load_dword s7, s[4:5], 0x10
	s_mov_b32 s5, 0
	v_mbcnt_lo_u32_b32 v0, -1, 0
	s_waitcnt lgkmcnt(0)
	s_and_b32 s4, s8, 0xffff
	s_mul_i32 s4, s6, s4
	s_lshl_b64 s[8:9], s[4:5], 2
	s_add_u32 s0, s0, s8
	s_addc_u32 s1, s1, s9
	s_load_dword s6, s[0:1], 0x0
	v_mbcnt_hi_u32_b32 v0, -1, v0
	s_mov_b32 s0, 0x6eb3e46
	v_mul_hi_u32 v1, v0, s0
	v_mul_u32_u24_e32 v1, 37, v1
	v_sub_u32_e32 v1, v0, v1
	v_lshlrev_b32_e32 v0, 2, v1
	s_waitcnt lgkmcnt(0)
	v_mov_b32_e32 v2, s6
	ds_write_b32 v0, v2
	v_add_u32_e32 v2, 32, v1
	v_cmp_gt_u32_e32 vcc, 5, v1
	v_cmp_gt_u32_e64 s[0:1], s7, v2
	s_and_b64 s[0:1], vcc, s[0:1]
	v_readfirstlane_b32 s5, v1
	v_cndmask_b32_e64 v1, 0, 1, s[0:1]
	v_cmp_ne_u32_e32 vcc, 1, v1
	s_and_b64 s[0:1], vcc, exec
	; wave barrier
	s_cbranch_scc1 .LBB66_2
; %bb.1:
	ds_read2_b32 v[2:3], v0 offset1:32
	s_waitcnt lgkmcnt(0)
	v_add_f32_e32 v1, v2, v3
	s_branch .LBB66_3
.LBB66_2:
	v_mov_b32_e32 v1, s6
.LBB66_3:
	s_and_b64 vcc, exec, vcc
	; wave barrier
	s_cbranch_vccnz .LBB66_5
; %bb.4:
	ds_write_b32 v0, v1
.LBB66_5:
	s_add_i32 s6, s5, 16
	s_cmp_lt_u32 s5, 16
	s_cselect_b64 s[0:1], -1, 0
	s_cmp_lt_u32 s6, s7
	s_cselect_b64 s[8:9], -1, 0
	s_and_b64 s[8:9], s[0:1], s[8:9]
	v_cndmask_b32_e64 v2, 0, 1, s[8:9]
	v_cmp_ne_u32_e64 s[0:1], 1, v2
	s_andn2_b64 vcc, exec, s[8:9]
	; wave barrier
	s_cbranch_vccnz .LBB66_7
; %bb.6:
	ds_read2_b32 v[2:3], v0 offset1:16
	s_waitcnt lgkmcnt(0)
	v_add_f32_e32 v1, v2, v3
.LBB66_7:
	s_and_b64 vcc, exec, s[0:1]
	; wave barrier
	s_cbranch_vccnz .LBB66_9
; %bb.8:
	ds_write_b32 v0, v1
.LBB66_9:
	s_add_i32 s6, s5, 8
	s_cmp_lt_u32 s5, 8
	s_cselect_b64 s[0:1], -1, 0
	s_cmp_lt_u32 s6, s7
	s_cselect_b64 s[8:9], -1, 0
	s_and_b64 s[8:9], s[0:1], s[8:9]
	v_cndmask_b32_e64 v2, 0, 1, s[8:9]
	v_cmp_ne_u32_e64 s[0:1], 1, v2
	s_andn2_b64 vcc, exec, s[8:9]
	; wave barrier
	s_cbranch_vccnz .LBB66_11
; %bb.10:
	ds_read2_b32 v[2:3], v0 offset1:8
	s_waitcnt lgkmcnt(0)
	v_add_f32_e32 v1, v2, v3
.LBB66_11:
	s_and_b64 vcc, exec, s[0:1]
	;; [unrolled: 22-line block ×4, first 2 shown]
	; wave barrier
	s_cbranch_vccnz .LBB66_21
; %bb.20:
	ds_write_b32 v0, v1
.LBB66_21:
	s_add_i32 s6, s5, 1
	s_cmp_eq_u32 s5, 0
	s_cselect_b64 s[0:1], -1, 0
	s_cmp_lt_u32 s6, s7
	s_cselect_b64 s[6:7], -1, 0
	s_and_b64 s[6:7], s[0:1], s[6:7]
	v_cndmask_b32_e64 v2, 0, 1, s[6:7]
	v_cmp_ne_u32_e64 s[0:1], 1, v2
	s_andn2_b64 vcc, exec, s[6:7]
	; wave barrier
	s_cbranch_vccnz .LBB66_23
; %bb.22:
	v_mov_b32_e32 v1, 0
	ds_read_b32 v2, v0
	ds_read_b32 v1, v1 offset:4
	s_waitcnt lgkmcnt(0)
	v_add_f32_e32 v1, v2, v1
.LBB66_23:
	s_and_b64 vcc, exec, s[0:1]
	; wave barrier
	s_cbranch_vccnz .LBB66_25
; %bb.24:
	ds_write_b32 v0, v1
.LBB66_25:
	; wave barrier
	s_branch .LBB66_27
; %bb.26:
	s_endpgm
.LBB66_27:
	s_mul_hi_u32 s0, s4, 0xbacf914d
	s_sub_i32 s1, s4, s0
	s_lshr_b32 s1, s1, 1
	s_add_i32 s1, s1, s0
	s_lshr_b32 s0, s1, 3
	s_and_b32 s0, s0, 0x1ffffffc
	v_mov_b32_e32 v0, s0
	global_store_dword v0, v1, s[2:3]
	s_endpgm
	.section	.rodata,"a",@progbits
	.p2align	6, 0x0
	.amdhsa_kernel _Z24warp_reduce_valid_kernelIfLj1ELj37EENSt9enable_ifIXsr10test_utilsE35device_test_enabled_for_warp_size_vIXT1_EEEvE4typeEPT_S4_i
		.amdhsa_group_segment_fixed_size 148
		.amdhsa_private_segment_fixed_size 0
		.amdhsa_kernarg_size 280
		.amdhsa_user_sgpr_count 6
		.amdhsa_user_sgpr_private_segment_buffer 1
		.amdhsa_user_sgpr_dispatch_ptr 0
		.amdhsa_user_sgpr_queue_ptr 0
		.amdhsa_user_sgpr_kernarg_segment_ptr 1
		.amdhsa_user_sgpr_dispatch_id 0
		.amdhsa_user_sgpr_flat_scratch_init 0
		.amdhsa_user_sgpr_kernarg_preload_length 0
		.amdhsa_user_sgpr_kernarg_preload_offset 0
		.amdhsa_user_sgpr_private_segment_size 0
		.amdhsa_uses_dynamic_stack 0
		.amdhsa_system_sgpr_private_segment_wavefront_offset 0
		.amdhsa_system_sgpr_workgroup_id_x 1
		.amdhsa_system_sgpr_workgroup_id_y 0
		.amdhsa_system_sgpr_workgroup_id_z 0
		.amdhsa_system_sgpr_workgroup_info 0
		.amdhsa_system_vgpr_workitem_id 0
		.amdhsa_next_free_vgpr 4
		.amdhsa_next_free_sgpr 10
		.amdhsa_accum_offset 4
		.amdhsa_reserve_vcc 1
		.amdhsa_reserve_flat_scratch 0
		.amdhsa_float_round_mode_32 0
		.amdhsa_float_round_mode_16_64 0
		.amdhsa_float_denorm_mode_32 3
		.amdhsa_float_denorm_mode_16_64 3
		.amdhsa_dx10_clamp 1
		.amdhsa_ieee_mode 1
		.amdhsa_fp16_overflow 0
		.amdhsa_tg_split 0
		.amdhsa_exception_fp_ieee_invalid_op 0
		.amdhsa_exception_fp_denorm_src 0
		.amdhsa_exception_fp_ieee_div_zero 0
		.amdhsa_exception_fp_ieee_overflow 0
		.amdhsa_exception_fp_ieee_underflow 0
		.amdhsa_exception_fp_ieee_inexact 0
		.amdhsa_exception_int_div_zero 0
	.end_amdhsa_kernel
	.section	.text._Z24warp_reduce_valid_kernelIfLj1ELj37EENSt9enable_ifIXsr10test_utilsE35device_test_enabled_for_warp_size_vIXT1_EEEvE4typeEPT_S4_i,"axG",@progbits,_Z24warp_reduce_valid_kernelIfLj1ELj37EENSt9enable_ifIXsr10test_utilsE35device_test_enabled_for_warp_size_vIXT1_EEEvE4typeEPT_S4_i,comdat
.Lfunc_end66:
	.size	_Z24warp_reduce_valid_kernelIfLj1ELj37EENSt9enable_ifIXsr10test_utilsE35device_test_enabled_for_warp_size_vIXT1_EEEvE4typeEPT_S4_i, .Lfunc_end66-_Z24warp_reduce_valid_kernelIfLj1ELj37EENSt9enable_ifIXsr10test_utilsE35device_test_enabled_for_warp_size_vIXT1_EEEvE4typeEPT_S4_i
                                        ; -- End function
	.section	.AMDGPU.csdata,"",@progbits
; Kernel info:
; codeLenInByte = 676
; NumSgprs: 14
; NumVgprs: 4
; NumAgprs: 0
; TotalNumVgprs: 4
; ScratchSize: 0
; MemoryBound: 0
; FloatMode: 240
; IeeeMode: 1
; LDSByteSize: 148 bytes/workgroup (compile time only)
; SGPRBlocks: 1
; VGPRBlocks: 0
; NumSGPRsForWavesPerEU: 14
; NumVGPRsForWavesPerEU: 4
; AccumOffset: 4
; Occupancy: 8
; WaveLimiterHint : 0
; COMPUTE_PGM_RSRC2:SCRATCH_EN: 0
; COMPUTE_PGM_RSRC2:USER_SGPR: 6
; COMPUTE_PGM_RSRC2:TRAP_HANDLER: 0
; COMPUTE_PGM_RSRC2:TGID_X_EN: 1
; COMPUTE_PGM_RSRC2:TGID_Y_EN: 0
; COMPUTE_PGM_RSRC2:TGID_Z_EN: 0
; COMPUTE_PGM_RSRC2:TIDIG_COMP_CNT: 0
; COMPUTE_PGM_RSRC3_GFX90A:ACCUM_OFFSET: 0
; COMPUTE_PGM_RSRC3_GFX90A:TG_SPLIT: 0
	.section	.text._Z24warp_reduce_valid_kernelIfLj37ELj37EENSt9enable_ifIXsr10test_utilsE35device_test_enabled_for_warp_size_vIXT1_EEEvE4typeEPT_S4_i,"axG",@progbits,_Z24warp_reduce_valid_kernelIfLj37ELj37EENSt9enable_ifIXsr10test_utilsE35device_test_enabled_for_warp_size_vIXT1_EEEvE4typeEPT_S4_i,comdat
	.protected	_Z24warp_reduce_valid_kernelIfLj37ELj37EENSt9enable_ifIXsr10test_utilsE35device_test_enabled_for_warp_size_vIXT1_EEEvE4typeEPT_S4_i ; -- Begin function _Z24warp_reduce_valid_kernelIfLj37ELj37EENSt9enable_ifIXsr10test_utilsE35device_test_enabled_for_warp_size_vIXT1_EEEvE4typeEPT_S4_i
	.globl	_Z24warp_reduce_valid_kernelIfLj37ELj37EENSt9enable_ifIXsr10test_utilsE35device_test_enabled_for_warp_size_vIXT1_EEEvE4typeEPT_S4_i
	.p2align	8
	.type	_Z24warp_reduce_valid_kernelIfLj37ELj37EENSt9enable_ifIXsr10test_utilsE35device_test_enabled_for_warp_size_vIXT1_EEEvE4typeEPT_S4_i,@function
_Z24warp_reduce_valid_kernelIfLj37ELj37EENSt9enable_ifIXsr10test_utilsE35device_test_enabled_for_warp_size_vIXT1_EEEvE4typeEPT_S4_i: ; @_Z24warp_reduce_valid_kernelIfLj37ELj37EENSt9enable_ifIXsr10test_utilsE35device_test_enabled_for_warp_size_vIXT1_EEEvE4typeEPT_S4_i
; %bb.0:
	s_load_dword s8, s[4:5], 0x24
	s_load_dwordx4 s[0:3], s[4:5], 0x0
	s_load_dword s7, s[4:5], 0x10
	v_mov_b32_e32 v3, 0
	s_waitcnt lgkmcnt(0)
	s_and_b32 s4, s8, 0xffff
	s_mul_i32 s6, s6, s4
	v_add_u32_e32 v2, s6, v0
	v_lshlrev_b64 v[4:5], 2, v[2:3]
	v_mov_b32_e32 v1, s1
	v_add_co_u32_e32 v4, vcc, s0, v4
	v_addc_co_u32_e32 v5, vcc, v1, v5, vcc
	global_load_dword v1, v[4:5], off
	v_mbcnt_lo_u32_b32 v3, -1, 0
	s_mov_b32 s1, 0x6eb3e46
	v_mul_u32_u24_e32 v4, 0x6ec, v0
	v_mbcnt_hi_u32_b32 v5, -1, v3
	v_lshrrev_b32_e32 v3, 16, v4
	v_mul_hi_u32 v4, v5, s1
	v_mul_u32_u24_e32 v4, 37, v4
	v_sub_u32_e32 v5, v5, v4
	s_movk_i32 s0, 0x94
	v_lshlrev_b32_e32 v4, 2, v5
	v_add_u32_e32 v6, 32, v5
	v_cmp_gt_u32_e32 vcc, 5, v5
	v_mad_u32_u24 v4, v3, s0, v4
	v_cmp_gt_u32_e64 s[0:1], s7, v6
	s_and_b64 s[0:1], vcc, s[0:1]
	s_waitcnt vmcnt(0)
	ds_write_b32 v4, v1
	; wave barrier
	s_and_saveexec_b64 s[4:5], s[0:1]
	s_cbranch_execz .LBB67_2
; %bb.1:
	ds_read2_b32 v[6:7], v4 offset1:32
	s_waitcnt lgkmcnt(0)
	v_add_f32_e32 v1, v6, v7
.LBB67_2:
	s_or_b64 exec, exec, s[4:5]
	; wave barrier
	s_and_saveexec_b64 s[4:5], s[0:1]
	s_cbranch_execz .LBB67_4
; %bb.3:
	ds_write_b32 v4, v1
.LBB67_4:
	s_or_b64 exec, exec, s[4:5]
	v_add_u32_e32 v6, 16, v5
	v_cmp_gt_u32_e32 vcc, 16, v5
	v_cmp_gt_u32_e64 s[0:1], s7, v6
	s_and_b64 s[0:1], vcc, s[0:1]
	; wave barrier
	s_and_saveexec_b64 s[4:5], s[0:1]
	s_cbranch_execz .LBB67_6
; %bb.5:
	ds_read2_b32 v[6:7], v4 offset1:16
	s_waitcnt lgkmcnt(0)
	v_add_f32_e32 v1, v6, v7
.LBB67_6:
	s_or_b64 exec, exec, s[4:5]
	; wave barrier
	s_and_saveexec_b64 s[4:5], s[0:1]
	s_cbranch_execz .LBB67_8
; %bb.7:
	ds_write_b32 v4, v1
.LBB67_8:
	s_or_b64 exec, exec, s[4:5]
	v_add_u32_e32 v6, 8, v5
	v_cmp_gt_u32_e32 vcc, 8, v5
	v_cmp_gt_u32_e64 s[0:1], s7, v6
	s_and_b64 s[0:1], vcc, s[0:1]
	;; [unrolled: 20-line block ×4, first 2 shown]
	; wave barrier
	s_and_saveexec_b64 s[4:5], s[0:1]
	s_cbranch_execz .LBB67_18
; %bb.17:
	ds_read2_b32 v[6:7], v4 offset1:2
	s_waitcnt lgkmcnt(0)
	v_add_f32_e32 v1, v6, v7
.LBB67_18:
	s_or_b64 exec, exec, s[4:5]
	; wave barrier
	s_and_saveexec_b64 s[4:5], s[0:1]
	s_cbranch_execz .LBB67_20
; %bb.19:
	ds_write_b32 v4, v1
.LBB67_20:
	s_or_b64 exec, exec, s[4:5]
	v_add_u32_e32 v6, 1, v5
	v_cmp_eq_u32_e32 vcc, 0, v5
	v_cmp_gt_u32_e64 s[0:1], s7, v6
	s_and_b64 s[0:1], vcc, s[0:1]
	; wave barrier
	s_and_saveexec_b64 s[4:5], s[0:1]
	s_cbranch_execz .LBB67_22
; %bb.21:
	v_mul_u32_u24_e32 v1, 0x94, v3
	ds_read_b32 v5, v4
	ds_read_b32 v1, v1 offset:4
	s_waitcnt lgkmcnt(0)
	v_add_f32_e32 v1, v5, v1
.LBB67_22:
	s_or_b64 exec, exec, s[4:5]
	; wave barrier
	s_and_saveexec_b64 s[4:5], s[0:1]
	s_cbranch_execz .LBB67_24
; %bb.23:
	ds_write_b32 v4, v1
.LBB67_24:
	s_or_b64 exec, exec, s[4:5]
	v_mul_lo_u16_e32 v3, 37, v3
	v_sub_u16_e32 v0, v0, v3
	v_cmp_eq_u16_e32 vcc, 0, v0
	; wave barrier
	s_and_saveexec_b64 s[0:1], vcc
	s_cbranch_execz .LBB67_26
; %bb.25:
	s_mov_b32 s0, 0xbacf914d
	v_mul_hi_u32 v0, v2, s0
	v_sub_u32_e32 v2, v2, v0
	v_lshrrev_b32_e32 v2, 1, v2
	v_add_u32_e32 v0, v2, v0
	v_lshrrev_b32_e32 v0, 3, v0
	v_and_b32_e32 v0, 0x1ffffffc, v0
	global_store_dword v0, v1, s[2:3]
.LBB67_26:
	s_endpgm
	.section	.rodata,"a",@progbits
	.p2align	6, 0x0
	.amdhsa_kernel _Z24warp_reduce_valid_kernelIfLj37ELj37EENSt9enable_ifIXsr10test_utilsE35device_test_enabled_for_warp_size_vIXT1_EEEvE4typeEPT_S4_i
		.amdhsa_group_segment_fixed_size 148
		.amdhsa_private_segment_fixed_size 0
		.amdhsa_kernarg_size 280
		.amdhsa_user_sgpr_count 6
		.amdhsa_user_sgpr_private_segment_buffer 1
		.amdhsa_user_sgpr_dispatch_ptr 0
		.amdhsa_user_sgpr_queue_ptr 0
		.amdhsa_user_sgpr_kernarg_segment_ptr 1
		.amdhsa_user_sgpr_dispatch_id 0
		.amdhsa_user_sgpr_flat_scratch_init 0
		.amdhsa_user_sgpr_kernarg_preload_length 0
		.amdhsa_user_sgpr_kernarg_preload_offset 0
		.amdhsa_user_sgpr_private_segment_size 0
		.amdhsa_uses_dynamic_stack 0
		.amdhsa_system_sgpr_private_segment_wavefront_offset 0
		.amdhsa_system_sgpr_workgroup_id_x 1
		.amdhsa_system_sgpr_workgroup_id_y 0
		.amdhsa_system_sgpr_workgroup_id_z 0
		.amdhsa_system_sgpr_workgroup_info 0
		.amdhsa_system_vgpr_workitem_id 0
		.amdhsa_next_free_vgpr 8
		.amdhsa_next_free_sgpr 9
		.amdhsa_accum_offset 8
		.amdhsa_reserve_vcc 1
		.amdhsa_reserve_flat_scratch 0
		.amdhsa_float_round_mode_32 0
		.amdhsa_float_round_mode_16_64 0
		.amdhsa_float_denorm_mode_32 3
		.amdhsa_float_denorm_mode_16_64 3
		.amdhsa_dx10_clamp 1
		.amdhsa_ieee_mode 1
		.amdhsa_fp16_overflow 0
		.amdhsa_tg_split 0
		.amdhsa_exception_fp_ieee_invalid_op 0
		.amdhsa_exception_fp_denorm_src 0
		.amdhsa_exception_fp_ieee_div_zero 0
		.amdhsa_exception_fp_ieee_overflow 0
		.amdhsa_exception_fp_ieee_underflow 0
		.amdhsa_exception_fp_ieee_inexact 0
		.amdhsa_exception_int_div_zero 0
	.end_amdhsa_kernel
	.section	.text._Z24warp_reduce_valid_kernelIfLj37ELj37EENSt9enable_ifIXsr10test_utilsE35device_test_enabled_for_warp_size_vIXT1_EEEvE4typeEPT_S4_i,"axG",@progbits,_Z24warp_reduce_valid_kernelIfLj37ELj37EENSt9enable_ifIXsr10test_utilsE35device_test_enabled_for_warp_size_vIXT1_EEEvE4typeEPT_S4_i,comdat
.Lfunc_end67:
	.size	_Z24warp_reduce_valid_kernelIfLj37ELj37EENSt9enable_ifIXsr10test_utilsE35device_test_enabled_for_warp_size_vIXT1_EEEvE4typeEPT_S4_i, .Lfunc_end67-_Z24warp_reduce_valid_kernelIfLj37ELj37EENSt9enable_ifIXsr10test_utilsE35device_test_enabled_for_warp_size_vIXT1_EEEvE4typeEPT_S4_i
                                        ; -- End function
	.section	.AMDGPU.csdata,"",@progbits
; Kernel info:
; codeLenInByte = 652
; NumSgprs: 13
; NumVgprs: 8
; NumAgprs: 0
; TotalNumVgprs: 8
; ScratchSize: 0
; MemoryBound: 0
; FloatMode: 240
; IeeeMode: 1
; LDSByteSize: 148 bytes/workgroup (compile time only)
; SGPRBlocks: 1
; VGPRBlocks: 0
; NumSGPRsForWavesPerEU: 13
; NumVGPRsForWavesPerEU: 8
; AccumOffset: 8
; Occupancy: 8
; WaveLimiterHint : 0
; COMPUTE_PGM_RSRC2:SCRATCH_EN: 0
; COMPUTE_PGM_RSRC2:USER_SGPR: 6
; COMPUTE_PGM_RSRC2:TRAP_HANDLER: 0
; COMPUTE_PGM_RSRC2:TGID_X_EN: 1
; COMPUTE_PGM_RSRC2:TGID_Y_EN: 0
; COMPUTE_PGM_RSRC2:TGID_Z_EN: 0
; COMPUTE_PGM_RSRC2:TIDIG_COMP_CNT: 0
; COMPUTE_PGM_RSRC3_GFX90A:ACCUM_OFFSET: 1
; COMPUTE_PGM_RSRC3_GFX90A:TG_SPLIT: 0
	.section	.text._Z24warp_reduce_valid_kernelIfLj30ELj15EENSt9enable_ifIXsr10test_utilsE35device_test_enabled_for_warp_size_vIXT1_EEEvE4typeEPT_S4_i,"axG",@progbits,_Z24warp_reduce_valid_kernelIfLj30ELj15EENSt9enable_ifIXsr10test_utilsE35device_test_enabled_for_warp_size_vIXT1_EEEvE4typeEPT_S4_i,comdat
	.protected	_Z24warp_reduce_valid_kernelIfLj30ELj15EENSt9enable_ifIXsr10test_utilsE35device_test_enabled_for_warp_size_vIXT1_EEEvE4typeEPT_S4_i ; -- Begin function _Z24warp_reduce_valid_kernelIfLj30ELj15EENSt9enable_ifIXsr10test_utilsE35device_test_enabled_for_warp_size_vIXT1_EEEvE4typeEPT_S4_i
	.globl	_Z24warp_reduce_valid_kernelIfLj30ELj15EENSt9enable_ifIXsr10test_utilsE35device_test_enabled_for_warp_size_vIXT1_EEEvE4typeEPT_S4_i
	.p2align	8
	.type	_Z24warp_reduce_valid_kernelIfLj30ELj15EENSt9enable_ifIXsr10test_utilsE35device_test_enabled_for_warp_size_vIXT1_EEEvE4typeEPT_S4_i,@function
_Z24warp_reduce_valid_kernelIfLj30ELj15EENSt9enable_ifIXsr10test_utilsE35device_test_enabled_for_warp_size_vIXT1_EEEvE4typeEPT_S4_i: ; @_Z24warp_reduce_valid_kernelIfLj30ELj15EENSt9enable_ifIXsr10test_utilsE35device_test_enabled_for_warp_size_vIXT1_EEEvE4typeEPT_S4_i
; %bb.0:
	s_load_dword s8, s[4:5], 0x24
	s_load_dwordx4 s[0:3], s[4:5], 0x0
	s_load_dword s7, s[4:5], 0x10
	v_mov_b32_e32 v3, 0
	s_waitcnt lgkmcnt(0)
	s_and_b32 s4, s8, 0xffff
	s_mul_i32 s6, s6, s4
	v_add_u32_e32 v2, s6, v0
	v_lshlrev_b64 v[4:5], 2, v[2:3]
	v_mov_b32_e32 v1, s1
	v_add_co_u32_e32 v4, vcc, s0, v4
	v_addc_co_u32_e32 v5, vcc, v1, v5, vcc
	global_load_dword v1, v[4:5], off
	v_mbcnt_lo_u32_b32 v3, -1, 0
	s_mov_b32 s0, 0x11111112
	v_mul_u32_u24_e32 v4, 0x1112, v0
	v_mbcnt_hi_u32_b32 v5, -1, v3
	v_lshrrev_b32_e32 v3, 16, v4
	v_mul_hi_u32 v4, v5, s0
	v_mul_u32_u24_e32 v4, 15, v4
	v_sub_u32_e32 v5, v5, v4
	v_add_u32_e32 v6, 8, v5
	v_lshlrev_b32_e32 v4, 2, v5
	v_cmp_gt_u32_e32 vcc, 7, v5
	v_cmp_gt_u32_e64 s[0:1], s7, v6
	v_mad_u32_u24 v4, v3, 60, v4
	s_and_b64 s[0:1], vcc, s[0:1]
	s_waitcnt vmcnt(0)
	ds_write_b32 v4, v1
	; wave barrier
	s_and_saveexec_b64 s[4:5], s[0:1]
	s_cbranch_execz .LBB68_2
; %bb.1:
	ds_read2_b32 v[6:7], v4 offset1:8
	s_waitcnt lgkmcnt(0)
	v_add_f32_e32 v1, v6, v7
.LBB68_2:
	s_or_b64 exec, exec, s[4:5]
	; wave barrier
	s_and_saveexec_b64 s[4:5], s[0:1]
	s_cbranch_execz .LBB68_4
; %bb.3:
	ds_write_b32 v4, v1
.LBB68_4:
	s_or_b64 exec, exec, s[4:5]
	v_add_u32_e32 v6, 4, v5
	v_cmp_gt_u32_e32 vcc, 4, v5
	v_cmp_gt_u32_e64 s[0:1], s7, v6
	s_and_b64 s[0:1], vcc, s[0:1]
	; wave barrier
	s_and_saveexec_b64 s[4:5], s[0:1]
	s_cbranch_execz .LBB68_6
; %bb.5:
	ds_read2_b32 v[6:7], v4 offset1:4
	s_waitcnt lgkmcnt(0)
	v_add_f32_e32 v1, v6, v7
.LBB68_6:
	s_or_b64 exec, exec, s[4:5]
	; wave barrier
	s_and_saveexec_b64 s[4:5], s[0:1]
	s_cbranch_execz .LBB68_8
; %bb.7:
	ds_write_b32 v4, v1
.LBB68_8:
	s_or_b64 exec, exec, s[4:5]
	v_add_u32_e32 v6, 2, v5
	v_cmp_gt_u32_e32 vcc, 2, v5
	v_cmp_gt_u32_e64 s[0:1], s7, v6
	s_and_b64 s[0:1], vcc, s[0:1]
	; wave barrier
	s_and_saveexec_b64 s[4:5], s[0:1]
	s_cbranch_execz .LBB68_10
; %bb.9:
	ds_read2_b32 v[6:7], v4 offset1:2
	s_waitcnt lgkmcnt(0)
	v_add_f32_e32 v1, v6, v7
.LBB68_10:
	s_or_b64 exec, exec, s[4:5]
	; wave barrier
	s_and_saveexec_b64 s[4:5], s[0:1]
	s_cbranch_execz .LBB68_12
; %bb.11:
	ds_write_b32 v4, v1
.LBB68_12:
	s_or_b64 exec, exec, s[4:5]
	v_add_u32_e32 v6, 1, v5
	v_cmp_eq_u32_e32 vcc, 0, v5
	v_cmp_gt_u32_e64 s[0:1], s7, v6
	s_and_b64 s[0:1], vcc, s[0:1]
	; wave barrier
	s_and_saveexec_b64 s[4:5], s[0:1]
	s_cbranch_execz .LBB68_14
; %bb.13:
	v_mul_u32_u24_e32 v1, 60, v3
	ds_read_b32 v5, v4
	ds_read_b32 v1, v1 offset:4
	s_waitcnt lgkmcnt(0)
	v_add_f32_e32 v1, v5, v1
.LBB68_14:
	s_or_b64 exec, exec, s[4:5]
	; wave barrier
	s_and_saveexec_b64 s[4:5], s[0:1]
	s_cbranch_execz .LBB68_16
; %bb.15:
	ds_write_b32 v4, v1
.LBB68_16:
	s_or_b64 exec, exec, s[4:5]
	v_mul_lo_u16_e32 v3, 15, v3
	v_sub_u16_e32 v0, v0, v3
	v_cmp_eq_u16_e32 vcc, 0, v0
	; wave barrier
	s_and_saveexec_b64 s[0:1], vcc
	s_cbranch_execz .LBB68_18
; %bb.17:
	s_mov_b32 s0, 0x88888889
	v_mul_hi_u32 v0, v2, s0
	v_lshrrev_b32_e32 v0, 1, v0
	v_and_b32_e32 v0, 0x7ffffffc, v0
	global_store_dword v0, v1, s[2:3]
.LBB68_18:
	s_endpgm
	.section	.rodata,"a",@progbits
	.p2align	6, 0x0
	.amdhsa_kernel _Z24warp_reduce_valid_kernelIfLj30ELj15EENSt9enable_ifIXsr10test_utilsE35device_test_enabled_for_warp_size_vIXT1_EEEvE4typeEPT_S4_i
		.amdhsa_group_segment_fixed_size 120
		.amdhsa_private_segment_fixed_size 0
		.amdhsa_kernarg_size 280
		.amdhsa_user_sgpr_count 6
		.amdhsa_user_sgpr_private_segment_buffer 1
		.amdhsa_user_sgpr_dispatch_ptr 0
		.amdhsa_user_sgpr_queue_ptr 0
		.amdhsa_user_sgpr_kernarg_segment_ptr 1
		.amdhsa_user_sgpr_dispatch_id 0
		.amdhsa_user_sgpr_flat_scratch_init 0
		.amdhsa_user_sgpr_kernarg_preload_length 0
		.amdhsa_user_sgpr_kernarg_preload_offset 0
		.amdhsa_user_sgpr_private_segment_size 0
		.amdhsa_uses_dynamic_stack 0
		.amdhsa_system_sgpr_private_segment_wavefront_offset 0
		.amdhsa_system_sgpr_workgroup_id_x 1
		.amdhsa_system_sgpr_workgroup_id_y 0
		.amdhsa_system_sgpr_workgroup_id_z 0
		.amdhsa_system_sgpr_workgroup_info 0
		.amdhsa_system_vgpr_workitem_id 0
		.amdhsa_next_free_vgpr 8
		.amdhsa_next_free_sgpr 9
		.amdhsa_accum_offset 8
		.amdhsa_reserve_vcc 1
		.amdhsa_reserve_flat_scratch 0
		.amdhsa_float_round_mode_32 0
		.amdhsa_float_round_mode_16_64 0
		.amdhsa_float_denorm_mode_32 3
		.amdhsa_float_denorm_mode_16_64 3
		.amdhsa_dx10_clamp 1
		.amdhsa_ieee_mode 1
		.amdhsa_fp16_overflow 0
		.amdhsa_tg_split 0
		.amdhsa_exception_fp_ieee_invalid_op 0
		.amdhsa_exception_fp_denorm_src 0
		.amdhsa_exception_fp_ieee_div_zero 0
		.amdhsa_exception_fp_ieee_overflow 0
		.amdhsa_exception_fp_ieee_underflow 0
		.amdhsa_exception_fp_ieee_inexact 0
		.amdhsa_exception_int_div_zero 0
	.end_amdhsa_kernel
	.section	.text._Z24warp_reduce_valid_kernelIfLj30ELj15EENSt9enable_ifIXsr10test_utilsE35device_test_enabled_for_warp_size_vIXT1_EEEvE4typeEPT_S4_i,"axG",@progbits,_Z24warp_reduce_valid_kernelIfLj30ELj15EENSt9enable_ifIXsr10test_utilsE35device_test_enabled_for_warp_size_vIXT1_EEEvE4typeEPT_S4_i,comdat
.Lfunc_end68:
	.size	_Z24warp_reduce_valid_kernelIfLj30ELj15EENSt9enable_ifIXsr10test_utilsE35device_test_enabled_for_warp_size_vIXT1_EEEvE4typeEPT_S4_i, .Lfunc_end68-_Z24warp_reduce_valid_kernelIfLj30ELj15EENSt9enable_ifIXsr10test_utilsE35device_test_enabled_for_warp_size_vIXT1_EEEvE4typeEPT_S4_i
                                        ; -- End function
	.section	.AMDGPU.csdata,"",@progbits
; Kernel info:
; codeLenInByte = 496
; NumSgprs: 13
; NumVgprs: 8
; NumAgprs: 0
; TotalNumVgprs: 8
; ScratchSize: 0
; MemoryBound: 0
; FloatMode: 240
; IeeeMode: 1
; LDSByteSize: 120 bytes/workgroup (compile time only)
; SGPRBlocks: 1
; VGPRBlocks: 0
; NumSGPRsForWavesPerEU: 13
; NumVGPRsForWavesPerEU: 8
; AccumOffset: 8
; Occupancy: 8
; WaveLimiterHint : 0
; COMPUTE_PGM_RSRC2:SCRATCH_EN: 0
; COMPUTE_PGM_RSRC2:USER_SGPR: 6
; COMPUTE_PGM_RSRC2:TRAP_HANDLER: 0
; COMPUTE_PGM_RSRC2:TGID_X_EN: 1
; COMPUTE_PGM_RSRC2:TGID_Y_EN: 0
; COMPUTE_PGM_RSRC2:TGID_Z_EN: 0
; COMPUTE_PGM_RSRC2:TIDIG_COMP_CNT: 0
; COMPUTE_PGM_RSRC3_GFX90A:ACCUM_OFFSET: 1
; COMPUTE_PGM_RSRC3_GFX90A:TG_SPLIT: 0
	.section	.text._Z24warp_reduce_valid_kernelIfLj60ELj15EENSt9enable_ifIXsr10test_utilsE35device_test_enabled_for_warp_size_vIXT1_EEEvE4typeEPT_S4_i,"axG",@progbits,_Z24warp_reduce_valid_kernelIfLj60ELj15EENSt9enable_ifIXsr10test_utilsE35device_test_enabled_for_warp_size_vIXT1_EEEvE4typeEPT_S4_i,comdat
	.protected	_Z24warp_reduce_valid_kernelIfLj60ELj15EENSt9enable_ifIXsr10test_utilsE35device_test_enabled_for_warp_size_vIXT1_EEEvE4typeEPT_S4_i ; -- Begin function _Z24warp_reduce_valid_kernelIfLj60ELj15EENSt9enable_ifIXsr10test_utilsE35device_test_enabled_for_warp_size_vIXT1_EEEvE4typeEPT_S4_i
	.globl	_Z24warp_reduce_valid_kernelIfLj60ELj15EENSt9enable_ifIXsr10test_utilsE35device_test_enabled_for_warp_size_vIXT1_EEEvE4typeEPT_S4_i
	.p2align	8
	.type	_Z24warp_reduce_valid_kernelIfLj60ELj15EENSt9enable_ifIXsr10test_utilsE35device_test_enabled_for_warp_size_vIXT1_EEEvE4typeEPT_S4_i,@function
_Z24warp_reduce_valid_kernelIfLj60ELj15EENSt9enable_ifIXsr10test_utilsE35device_test_enabled_for_warp_size_vIXT1_EEEvE4typeEPT_S4_i: ; @_Z24warp_reduce_valid_kernelIfLj60ELj15EENSt9enable_ifIXsr10test_utilsE35device_test_enabled_for_warp_size_vIXT1_EEEvE4typeEPT_S4_i
; %bb.0:
	s_load_dword s8, s[4:5], 0x24
	s_load_dwordx4 s[0:3], s[4:5], 0x0
	s_load_dword s7, s[4:5], 0x10
	v_mov_b32_e32 v3, 0
	s_waitcnt lgkmcnt(0)
	s_and_b32 s4, s8, 0xffff
	s_mul_i32 s6, s6, s4
	v_add_u32_e32 v2, s6, v0
	v_lshlrev_b64 v[4:5], 2, v[2:3]
	v_mov_b32_e32 v1, s1
	v_add_co_u32_e32 v4, vcc, s0, v4
	v_addc_co_u32_e32 v5, vcc, v1, v5, vcc
	global_load_dword v1, v[4:5], off
	v_mbcnt_lo_u32_b32 v3, -1, 0
	s_mov_b32 s0, 0x11111112
	v_mul_u32_u24_e32 v4, 0x1112, v0
	v_mbcnt_hi_u32_b32 v5, -1, v3
	v_lshrrev_b32_e32 v3, 16, v4
	v_mul_hi_u32 v4, v5, s0
	v_mul_u32_u24_e32 v4, 15, v4
	v_sub_u32_e32 v5, v5, v4
	v_add_u32_e32 v6, 8, v5
	v_lshlrev_b32_e32 v4, 2, v5
	v_cmp_gt_u32_e32 vcc, 7, v5
	v_cmp_gt_u32_e64 s[0:1], s7, v6
	v_mad_u32_u24 v4, v3, 60, v4
	s_and_b64 s[0:1], vcc, s[0:1]
	s_waitcnt vmcnt(0)
	ds_write_b32 v4, v1
	; wave barrier
	s_and_saveexec_b64 s[4:5], s[0:1]
	s_cbranch_execz .LBB69_2
; %bb.1:
	ds_read2_b32 v[6:7], v4 offset1:8
	s_waitcnt lgkmcnt(0)
	v_add_f32_e32 v1, v6, v7
.LBB69_2:
	s_or_b64 exec, exec, s[4:5]
	; wave barrier
	s_and_saveexec_b64 s[4:5], s[0:1]
	s_cbranch_execz .LBB69_4
; %bb.3:
	ds_write_b32 v4, v1
.LBB69_4:
	s_or_b64 exec, exec, s[4:5]
	v_add_u32_e32 v6, 4, v5
	v_cmp_gt_u32_e32 vcc, 4, v5
	v_cmp_gt_u32_e64 s[0:1], s7, v6
	s_and_b64 s[0:1], vcc, s[0:1]
	; wave barrier
	s_and_saveexec_b64 s[4:5], s[0:1]
	s_cbranch_execz .LBB69_6
; %bb.5:
	ds_read2_b32 v[6:7], v4 offset1:4
	s_waitcnt lgkmcnt(0)
	v_add_f32_e32 v1, v6, v7
.LBB69_6:
	s_or_b64 exec, exec, s[4:5]
	; wave barrier
	s_and_saveexec_b64 s[4:5], s[0:1]
	s_cbranch_execz .LBB69_8
; %bb.7:
	ds_write_b32 v4, v1
.LBB69_8:
	s_or_b64 exec, exec, s[4:5]
	v_add_u32_e32 v6, 2, v5
	v_cmp_gt_u32_e32 vcc, 2, v5
	v_cmp_gt_u32_e64 s[0:1], s7, v6
	s_and_b64 s[0:1], vcc, s[0:1]
	; wave barrier
	s_and_saveexec_b64 s[4:5], s[0:1]
	s_cbranch_execz .LBB69_10
; %bb.9:
	ds_read2_b32 v[6:7], v4 offset1:2
	s_waitcnt lgkmcnt(0)
	v_add_f32_e32 v1, v6, v7
.LBB69_10:
	s_or_b64 exec, exec, s[4:5]
	; wave barrier
	s_and_saveexec_b64 s[4:5], s[0:1]
	s_cbranch_execz .LBB69_12
; %bb.11:
	ds_write_b32 v4, v1
.LBB69_12:
	s_or_b64 exec, exec, s[4:5]
	v_add_u32_e32 v6, 1, v5
	v_cmp_eq_u32_e32 vcc, 0, v5
	v_cmp_gt_u32_e64 s[0:1], s7, v6
	s_and_b64 s[0:1], vcc, s[0:1]
	; wave barrier
	s_and_saveexec_b64 s[4:5], s[0:1]
	s_cbranch_execz .LBB69_14
; %bb.13:
	v_mul_u32_u24_e32 v1, 60, v3
	ds_read_b32 v5, v4
	ds_read_b32 v1, v1 offset:4
	s_waitcnt lgkmcnt(0)
	v_add_f32_e32 v1, v5, v1
.LBB69_14:
	s_or_b64 exec, exec, s[4:5]
	; wave barrier
	s_and_saveexec_b64 s[4:5], s[0:1]
	s_cbranch_execz .LBB69_16
; %bb.15:
	ds_write_b32 v4, v1
.LBB69_16:
	s_or_b64 exec, exec, s[4:5]
	v_mul_lo_u16_e32 v3, 15, v3
	v_sub_u16_e32 v0, v0, v3
	v_cmp_eq_u16_e32 vcc, 0, v0
	; wave barrier
	s_and_saveexec_b64 s[0:1], vcc
	s_cbranch_execz .LBB69_18
; %bb.17:
	s_mov_b32 s0, 0x88888889
	v_mul_hi_u32 v0, v2, s0
	v_lshrrev_b32_e32 v0, 1, v0
	v_and_b32_e32 v0, 0x7ffffffc, v0
	global_store_dword v0, v1, s[2:3]
.LBB69_18:
	s_endpgm
	.section	.rodata,"a",@progbits
	.p2align	6, 0x0
	.amdhsa_kernel _Z24warp_reduce_valid_kernelIfLj60ELj15EENSt9enable_ifIXsr10test_utilsE35device_test_enabled_for_warp_size_vIXT1_EEEvE4typeEPT_S4_i
		.amdhsa_group_segment_fixed_size 240
		.amdhsa_private_segment_fixed_size 0
		.amdhsa_kernarg_size 280
		.amdhsa_user_sgpr_count 6
		.amdhsa_user_sgpr_private_segment_buffer 1
		.amdhsa_user_sgpr_dispatch_ptr 0
		.amdhsa_user_sgpr_queue_ptr 0
		.amdhsa_user_sgpr_kernarg_segment_ptr 1
		.amdhsa_user_sgpr_dispatch_id 0
		.amdhsa_user_sgpr_flat_scratch_init 0
		.amdhsa_user_sgpr_kernarg_preload_length 0
		.amdhsa_user_sgpr_kernarg_preload_offset 0
		.amdhsa_user_sgpr_private_segment_size 0
		.amdhsa_uses_dynamic_stack 0
		.amdhsa_system_sgpr_private_segment_wavefront_offset 0
		.amdhsa_system_sgpr_workgroup_id_x 1
		.amdhsa_system_sgpr_workgroup_id_y 0
		.amdhsa_system_sgpr_workgroup_id_z 0
		.amdhsa_system_sgpr_workgroup_info 0
		.amdhsa_system_vgpr_workitem_id 0
		.amdhsa_next_free_vgpr 8
		.amdhsa_next_free_sgpr 9
		.amdhsa_accum_offset 8
		.amdhsa_reserve_vcc 1
		.amdhsa_reserve_flat_scratch 0
		.amdhsa_float_round_mode_32 0
		.amdhsa_float_round_mode_16_64 0
		.amdhsa_float_denorm_mode_32 3
		.amdhsa_float_denorm_mode_16_64 3
		.amdhsa_dx10_clamp 1
		.amdhsa_ieee_mode 1
		.amdhsa_fp16_overflow 0
		.amdhsa_tg_split 0
		.amdhsa_exception_fp_ieee_invalid_op 0
		.amdhsa_exception_fp_denorm_src 0
		.amdhsa_exception_fp_ieee_div_zero 0
		.amdhsa_exception_fp_ieee_overflow 0
		.amdhsa_exception_fp_ieee_underflow 0
		.amdhsa_exception_fp_ieee_inexact 0
		.amdhsa_exception_int_div_zero 0
	.end_amdhsa_kernel
	.section	.text._Z24warp_reduce_valid_kernelIfLj60ELj15EENSt9enable_ifIXsr10test_utilsE35device_test_enabled_for_warp_size_vIXT1_EEEvE4typeEPT_S4_i,"axG",@progbits,_Z24warp_reduce_valid_kernelIfLj60ELj15EENSt9enable_ifIXsr10test_utilsE35device_test_enabled_for_warp_size_vIXT1_EEEvE4typeEPT_S4_i,comdat
.Lfunc_end69:
	.size	_Z24warp_reduce_valid_kernelIfLj60ELj15EENSt9enable_ifIXsr10test_utilsE35device_test_enabled_for_warp_size_vIXT1_EEEvE4typeEPT_S4_i, .Lfunc_end69-_Z24warp_reduce_valid_kernelIfLj60ELj15EENSt9enable_ifIXsr10test_utilsE35device_test_enabled_for_warp_size_vIXT1_EEEvE4typeEPT_S4_i
                                        ; -- End function
	.section	.AMDGPU.csdata,"",@progbits
; Kernel info:
; codeLenInByte = 496
; NumSgprs: 13
; NumVgprs: 8
; NumAgprs: 0
; TotalNumVgprs: 8
; ScratchSize: 0
; MemoryBound: 0
; FloatMode: 240
; IeeeMode: 1
; LDSByteSize: 240 bytes/workgroup (compile time only)
; SGPRBlocks: 1
; VGPRBlocks: 0
; NumSGPRsForWavesPerEU: 13
; NumVGPRsForWavesPerEU: 8
; AccumOffset: 8
; Occupancy: 8
; WaveLimiterHint : 0
; COMPUTE_PGM_RSRC2:SCRATCH_EN: 0
; COMPUTE_PGM_RSRC2:USER_SGPR: 6
; COMPUTE_PGM_RSRC2:TRAP_HANDLER: 0
; COMPUTE_PGM_RSRC2:TGID_X_EN: 1
; COMPUTE_PGM_RSRC2:TGID_Y_EN: 0
; COMPUTE_PGM_RSRC2:TGID_Z_EN: 0
; COMPUTE_PGM_RSRC2:TIDIG_COMP_CNT: 0
; COMPUTE_PGM_RSRC3_GFX90A:ACCUM_OFFSET: 1
; COMPUTE_PGM_RSRC3_GFX90A:TG_SPLIT: 0
	.section	.text._Z24warp_reduce_valid_kernelIfLj28ELj7EENSt9enable_ifIXsr10test_utilsE35device_test_enabled_for_warp_size_vIXT1_EEEvE4typeEPT_S4_i,"axG",@progbits,_Z24warp_reduce_valid_kernelIfLj28ELj7EENSt9enable_ifIXsr10test_utilsE35device_test_enabled_for_warp_size_vIXT1_EEEvE4typeEPT_S4_i,comdat
	.protected	_Z24warp_reduce_valid_kernelIfLj28ELj7EENSt9enable_ifIXsr10test_utilsE35device_test_enabled_for_warp_size_vIXT1_EEEvE4typeEPT_S4_i ; -- Begin function _Z24warp_reduce_valid_kernelIfLj28ELj7EENSt9enable_ifIXsr10test_utilsE35device_test_enabled_for_warp_size_vIXT1_EEEvE4typeEPT_S4_i
	.globl	_Z24warp_reduce_valid_kernelIfLj28ELj7EENSt9enable_ifIXsr10test_utilsE35device_test_enabled_for_warp_size_vIXT1_EEEvE4typeEPT_S4_i
	.p2align	8
	.type	_Z24warp_reduce_valid_kernelIfLj28ELj7EENSt9enable_ifIXsr10test_utilsE35device_test_enabled_for_warp_size_vIXT1_EEEvE4typeEPT_S4_i,@function
_Z24warp_reduce_valid_kernelIfLj28ELj7EENSt9enable_ifIXsr10test_utilsE35device_test_enabled_for_warp_size_vIXT1_EEEvE4typeEPT_S4_i: ; @_Z24warp_reduce_valid_kernelIfLj28ELj7EENSt9enable_ifIXsr10test_utilsE35device_test_enabled_for_warp_size_vIXT1_EEEvE4typeEPT_S4_i
; %bb.0:
	s_load_dword s8, s[4:5], 0x24
	s_load_dwordx4 s[0:3], s[4:5], 0x0
	s_load_dword s7, s[4:5], 0x10
	v_mov_b32_e32 v3, 0
	s_waitcnt lgkmcnt(0)
	s_and_b32 s4, s8, 0xffff
	s_mul_i32 s6, s6, s4
	v_add_u32_e32 v2, s6, v0
	v_lshlrev_b64 v[4:5], 2, v[2:3]
	v_mov_b32_e32 v1, s1
	v_add_co_u32_e32 v4, vcc, s0, v4
	v_addc_co_u32_e32 v5, vcc, v1, v5, vcc
	global_load_dword v1, v[4:5], off
	v_mbcnt_lo_u32_b32 v3, -1, 0
	s_mov_b32 s0, 0x24924925
	v_mul_u32_u24_e32 v4, 0x2493, v0
	v_mbcnt_hi_u32_b32 v5, -1, v3
	v_lshrrev_b32_e32 v3, 16, v4
	v_mul_hi_u32 v4, v5, s0
	v_mul_u32_u24_e32 v4, 7, v4
	v_sub_u32_e32 v5, v5, v4
	v_add_u32_e32 v6, 4, v5
	v_lshlrev_b32_e32 v4, 2, v5
	v_cmp_gt_u32_e32 vcc, 3, v5
	v_cmp_gt_u32_e64 s[0:1], s7, v6
	v_mad_u32_u24 v4, v3, 28, v4
	s_and_b64 s[0:1], vcc, s[0:1]
	s_waitcnt vmcnt(0)
	ds_write_b32 v4, v1
	; wave barrier
	s_and_saveexec_b64 s[4:5], s[0:1]
	s_cbranch_execz .LBB70_2
; %bb.1:
	ds_read2_b32 v[6:7], v4 offset1:4
	s_waitcnt lgkmcnt(0)
	v_add_f32_e32 v1, v6, v7
.LBB70_2:
	s_or_b64 exec, exec, s[4:5]
	; wave barrier
	s_and_saveexec_b64 s[4:5], s[0:1]
	s_cbranch_execz .LBB70_4
; %bb.3:
	ds_write_b32 v4, v1
.LBB70_4:
	s_or_b64 exec, exec, s[4:5]
	v_add_u32_e32 v6, 2, v5
	v_cmp_gt_u32_e32 vcc, 2, v5
	v_cmp_gt_u32_e64 s[0:1], s7, v6
	s_and_b64 s[0:1], vcc, s[0:1]
	; wave barrier
	s_and_saveexec_b64 s[4:5], s[0:1]
	s_cbranch_execz .LBB70_6
; %bb.5:
	ds_read2_b32 v[6:7], v4 offset1:2
	s_waitcnt lgkmcnt(0)
	v_add_f32_e32 v1, v6, v7
.LBB70_6:
	s_or_b64 exec, exec, s[4:5]
	; wave barrier
	s_and_saveexec_b64 s[4:5], s[0:1]
	s_cbranch_execz .LBB70_8
; %bb.7:
	ds_write_b32 v4, v1
.LBB70_8:
	s_or_b64 exec, exec, s[4:5]
	v_add_u32_e32 v6, 1, v5
	v_cmp_eq_u32_e32 vcc, 0, v5
	v_cmp_gt_u32_e64 s[0:1], s7, v6
	s_and_b64 s[0:1], vcc, s[0:1]
	; wave barrier
	s_and_saveexec_b64 s[4:5], s[0:1]
	s_cbranch_execz .LBB70_10
; %bb.9:
	v_mul_u32_u24_e32 v1, 28, v3
	ds_read_b32 v5, v4
	ds_read_b32 v1, v1 offset:4
	s_waitcnt lgkmcnt(0)
	v_add_f32_e32 v1, v5, v1
.LBB70_10:
	s_or_b64 exec, exec, s[4:5]
	; wave barrier
	s_and_saveexec_b64 s[4:5], s[0:1]
	s_cbranch_execz .LBB70_12
; %bb.11:
	ds_write_b32 v4, v1
.LBB70_12:
	s_or_b64 exec, exec, s[4:5]
	v_mul_lo_u16_e32 v3, 7, v3
	v_sub_u16_e32 v0, v0, v3
	v_cmp_eq_u16_e32 vcc, 0, v0
	; wave barrier
	s_and_saveexec_b64 s[0:1], vcc
	s_cbranch_execz .LBB70_14
; %bb.13:
	s_mov_b32 s0, 0x24924925
	v_mul_hi_u32 v0, v2, s0
	v_sub_u32_e32 v2, v2, v0
	v_lshrrev_b32_e32 v2, 1, v2
	v_add_u32_e32 v0, v2, v0
	v_and_b32_e32 v0, -4, v0
	global_store_dword v0, v1, s[2:3]
.LBB70_14:
	s_endpgm
	.section	.rodata,"a",@progbits
	.p2align	6, 0x0
	.amdhsa_kernel _Z24warp_reduce_valid_kernelIfLj28ELj7EENSt9enable_ifIXsr10test_utilsE35device_test_enabled_for_warp_size_vIXT1_EEEvE4typeEPT_S4_i
		.amdhsa_group_segment_fixed_size 112
		.amdhsa_private_segment_fixed_size 0
		.amdhsa_kernarg_size 280
		.amdhsa_user_sgpr_count 6
		.amdhsa_user_sgpr_private_segment_buffer 1
		.amdhsa_user_sgpr_dispatch_ptr 0
		.amdhsa_user_sgpr_queue_ptr 0
		.amdhsa_user_sgpr_kernarg_segment_ptr 1
		.amdhsa_user_sgpr_dispatch_id 0
		.amdhsa_user_sgpr_flat_scratch_init 0
		.amdhsa_user_sgpr_kernarg_preload_length 0
		.amdhsa_user_sgpr_kernarg_preload_offset 0
		.amdhsa_user_sgpr_private_segment_size 0
		.amdhsa_uses_dynamic_stack 0
		.amdhsa_system_sgpr_private_segment_wavefront_offset 0
		.amdhsa_system_sgpr_workgroup_id_x 1
		.amdhsa_system_sgpr_workgroup_id_y 0
		.amdhsa_system_sgpr_workgroup_id_z 0
		.amdhsa_system_sgpr_workgroup_info 0
		.amdhsa_system_vgpr_workitem_id 0
		.amdhsa_next_free_vgpr 8
		.amdhsa_next_free_sgpr 9
		.amdhsa_accum_offset 8
		.amdhsa_reserve_vcc 1
		.amdhsa_reserve_flat_scratch 0
		.amdhsa_float_round_mode_32 0
		.amdhsa_float_round_mode_16_64 0
		.amdhsa_float_denorm_mode_32 3
		.amdhsa_float_denorm_mode_16_64 3
		.amdhsa_dx10_clamp 1
		.amdhsa_ieee_mode 1
		.amdhsa_fp16_overflow 0
		.amdhsa_tg_split 0
		.amdhsa_exception_fp_ieee_invalid_op 0
		.amdhsa_exception_fp_denorm_src 0
		.amdhsa_exception_fp_ieee_div_zero 0
		.amdhsa_exception_fp_ieee_overflow 0
		.amdhsa_exception_fp_ieee_underflow 0
		.amdhsa_exception_fp_ieee_inexact 0
		.amdhsa_exception_int_div_zero 0
	.end_amdhsa_kernel
	.section	.text._Z24warp_reduce_valid_kernelIfLj28ELj7EENSt9enable_ifIXsr10test_utilsE35device_test_enabled_for_warp_size_vIXT1_EEEvE4typeEPT_S4_i,"axG",@progbits,_Z24warp_reduce_valid_kernelIfLj28ELj7EENSt9enable_ifIXsr10test_utilsE35device_test_enabled_for_warp_size_vIXT1_EEEvE4typeEPT_S4_i,comdat
.Lfunc_end70:
	.size	_Z24warp_reduce_valid_kernelIfLj28ELj7EENSt9enable_ifIXsr10test_utilsE35device_test_enabled_for_warp_size_vIXT1_EEEvE4typeEPT_S4_i, .Lfunc_end70-_Z24warp_reduce_valid_kernelIfLj28ELj7EENSt9enable_ifIXsr10test_utilsE35device_test_enabled_for_warp_size_vIXT1_EEEvE4typeEPT_S4_i
                                        ; -- End function
	.section	.AMDGPU.csdata,"",@progbits
; Kernel info:
; codeLenInByte = 432
; NumSgprs: 13
; NumVgprs: 8
; NumAgprs: 0
; TotalNumVgprs: 8
; ScratchSize: 0
; MemoryBound: 0
; FloatMode: 240
; IeeeMode: 1
; LDSByteSize: 112 bytes/workgroup (compile time only)
; SGPRBlocks: 1
; VGPRBlocks: 0
; NumSGPRsForWavesPerEU: 13
; NumVGPRsForWavesPerEU: 8
; AccumOffset: 8
; Occupancy: 8
; WaveLimiterHint : 0
; COMPUTE_PGM_RSRC2:SCRATCH_EN: 0
; COMPUTE_PGM_RSRC2:USER_SGPR: 6
; COMPUTE_PGM_RSRC2:TRAP_HANDLER: 0
; COMPUTE_PGM_RSRC2:TGID_X_EN: 1
; COMPUTE_PGM_RSRC2:TGID_Y_EN: 0
; COMPUTE_PGM_RSRC2:TGID_Z_EN: 0
; COMPUTE_PGM_RSRC2:TIDIG_COMP_CNT: 0
; COMPUTE_PGM_RSRC3_GFX90A:ACCUM_OFFSET: 1
; COMPUTE_PGM_RSRC3_GFX90A:TG_SPLIT: 0
	.section	.text._Z24warp_reduce_valid_kernelIfLj63ELj7EENSt9enable_ifIXsr10test_utilsE35device_test_enabled_for_warp_size_vIXT1_EEEvE4typeEPT_S4_i,"axG",@progbits,_Z24warp_reduce_valid_kernelIfLj63ELj7EENSt9enable_ifIXsr10test_utilsE35device_test_enabled_for_warp_size_vIXT1_EEEvE4typeEPT_S4_i,comdat
	.protected	_Z24warp_reduce_valid_kernelIfLj63ELj7EENSt9enable_ifIXsr10test_utilsE35device_test_enabled_for_warp_size_vIXT1_EEEvE4typeEPT_S4_i ; -- Begin function _Z24warp_reduce_valid_kernelIfLj63ELj7EENSt9enable_ifIXsr10test_utilsE35device_test_enabled_for_warp_size_vIXT1_EEEvE4typeEPT_S4_i
	.globl	_Z24warp_reduce_valid_kernelIfLj63ELj7EENSt9enable_ifIXsr10test_utilsE35device_test_enabled_for_warp_size_vIXT1_EEEvE4typeEPT_S4_i
	.p2align	8
	.type	_Z24warp_reduce_valid_kernelIfLj63ELj7EENSt9enable_ifIXsr10test_utilsE35device_test_enabled_for_warp_size_vIXT1_EEEvE4typeEPT_S4_i,@function
_Z24warp_reduce_valid_kernelIfLj63ELj7EENSt9enable_ifIXsr10test_utilsE35device_test_enabled_for_warp_size_vIXT1_EEEvE4typeEPT_S4_i: ; @_Z24warp_reduce_valid_kernelIfLj63ELj7EENSt9enable_ifIXsr10test_utilsE35device_test_enabled_for_warp_size_vIXT1_EEEvE4typeEPT_S4_i
; %bb.0:
	s_load_dword s8, s[4:5], 0x24
	s_load_dwordx4 s[0:3], s[4:5], 0x0
	s_load_dword s7, s[4:5], 0x10
	v_mov_b32_e32 v3, 0
	s_waitcnt lgkmcnt(0)
	s_and_b32 s4, s8, 0xffff
	s_mul_i32 s6, s6, s4
	v_add_u32_e32 v2, s6, v0
	v_lshlrev_b64 v[4:5], 2, v[2:3]
	v_mov_b32_e32 v1, s1
	v_add_co_u32_e32 v4, vcc, s0, v4
	v_addc_co_u32_e32 v5, vcc, v1, v5, vcc
	global_load_dword v1, v[4:5], off
	v_mbcnt_lo_u32_b32 v3, -1, 0
	s_mov_b32 s0, 0x24924925
	v_mul_u32_u24_e32 v4, 0x2493, v0
	v_mbcnt_hi_u32_b32 v5, -1, v3
	v_lshrrev_b32_e32 v3, 16, v4
	v_mul_hi_u32 v4, v5, s0
	v_mul_u32_u24_e32 v4, 7, v4
	v_sub_u32_e32 v5, v5, v4
	v_add_u32_e32 v6, 4, v5
	v_lshlrev_b32_e32 v4, 2, v5
	v_cmp_gt_u32_e32 vcc, 3, v5
	v_cmp_gt_u32_e64 s[0:1], s7, v6
	v_mad_u32_u24 v4, v3, 28, v4
	s_and_b64 s[0:1], vcc, s[0:1]
	s_waitcnt vmcnt(0)
	ds_write_b32 v4, v1
	; wave barrier
	s_and_saveexec_b64 s[4:5], s[0:1]
	s_cbranch_execz .LBB71_2
; %bb.1:
	ds_read2_b32 v[6:7], v4 offset1:4
	s_waitcnt lgkmcnt(0)
	v_add_f32_e32 v1, v6, v7
.LBB71_2:
	s_or_b64 exec, exec, s[4:5]
	; wave barrier
	s_and_saveexec_b64 s[4:5], s[0:1]
	s_cbranch_execz .LBB71_4
; %bb.3:
	ds_write_b32 v4, v1
.LBB71_4:
	s_or_b64 exec, exec, s[4:5]
	v_add_u32_e32 v6, 2, v5
	v_cmp_gt_u32_e32 vcc, 2, v5
	v_cmp_gt_u32_e64 s[0:1], s7, v6
	s_and_b64 s[0:1], vcc, s[0:1]
	; wave barrier
	s_and_saveexec_b64 s[4:5], s[0:1]
	s_cbranch_execz .LBB71_6
; %bb.5:
	ds_read2_b32 v[6:7], v4 offset1:2
	s_waitcnt lgkmcnt(0)
	v_add_f32_e32 v1, v6, v7
.LBB71_6:
	s_or_b64 exec, exec, s[4:5]
	; wave barrier
	s_and_saveexec_b64 s[4:5], s[0:1]
	s_cbranch_execz .LBB71_8
; %bb.7:
	ds_write_b32 v4, v1
.LBB71_8:
	s_or_b64 exec, exec, s[4:5]
	v_add_u32_e32 v6, 1, v5
	v_cmp_eq_u32_e32 vcc, 0, v5
	v_cmp_gt_u32_e64 s[0:1], s7, v6
	s_and_b64 s[0:1], vcc, s[0:1]
	; wave barrier
	s_and_saveexec_b64 s[4:5], s[0:1]
	s_cbranch_execz .LBB71_10
; %bb.9:
	v_mul_u32_u24_e32 v1, 28, v3
	ds_read_b32 v5, v4
	ds_read_b32 v1, v1 offset:4
	s_waitcnt lgkmcnt(0)
	v_add_f32_e32 v1, v5, v1
.LBB71_10:
	s_or_b64 exec, exec, s[4:5]
	; wave barrier
	s_and_saveexec_b64 s[4:5], s[0:1]
	s_cbranch_execz .LBB71_12
; %bb.11:
	ds_write_b32 v4, v1
.LBB71_12:
	s_or_b64 exec, exec, s[4:5]
	v_mul_lo_u16_e32 v3, 7, v3
	v_sub_u16_e32 v0, v0, v3
	v_cmp_eq_u16_e32 vcc, 0, v0
	; wave barrier
	s_and_saveexec_b64 s[0:1], vcc
	s_cbranch_execz .LBB71_14
; %bb.13:
	s_mov_b32 s0, 0x24924925
	v_mul_hi_u32 v0, v2, s0
	v_sub_u32_e32 v2, v2, v0
	v_lshrrev_b32_e32 v2, 1, v2
	v_add_u32_e32 v0, v2, v0
	v_and_b32_e32 v0, -4, v0
	global_store_dword v0, v1, s[2:3]
.LBB71_14:
	s_endpgm
	.section	.rodata,"a",@progbits
	.p2align	6, 0x0
	.amdhsa_kernel _Z24warp_reduce_valid_kernelIfLj63ELj7EENSt9enable_ifIXsr10test_utilsE35device_test_enabled_for_warp_size_vIXT1_EEEvE4typeEPT_S4_i
		.amdhsa_group_segment_fixed_size 252
		.amdhsa_private_segment_fixed_size 0
		.amdhsa_kernarg_size 280
		.amdhsa_user_sgpr_count 6
		.amdhsa_user_sgpr_private_segment_buffer 1
		.amdhsa_user_sgpr_dispatch_ptr 0
		.amdhsa_user_sgpr_queue_ptr 0
		.amdhsa_user_sgpr_kernarg_segment_ptr 1
		.amdhsa_user_sgpr_dispatch_id 0
		.amdhsa_user_sgpr_flat_scratch_init 0
		.amdhsa_user_sgpr_kernarg_preload_length 0
		.amdhsa_user_sgpr_kernarg_preload_offset 0
		.amdhsa_user_sgpr_private_segment_size 0
		.amdhsa_uses_dynamic_stack 0
		.amdhsa_system_sgpr_private_segment_wavefront_offset 0
		.amdhsa_system_sgpr_workgroup_id_x 1
		.amdhsa_system_sgpr_workgroup_id_y 0
		.amdhsa_system_sgpr_workgroup_id_z 0
		.amdhsa_system_sgpr_workgroup_info 0
		.amdhsa_system_vgpr_workitem_id 0
		.amdhsa_next_free_vgpr 8
		.amdhsa_next_free_sgpr 9
		.amdhsa_accum_offset 8
		.amdhsa_reserve_vcc 1
		.amdhsa_reserve_flat_scratch 0
		.amdhsa_float_round_mode_32 0
		.amdhsa_float_round_mode_16_64 0
		.amdhsa_float_denorm_mode_32 3
		.amdhsa_float_denorm_mode_16_64 3
		.amdhsa_dx10_clamp 1
		.amdhsa_ieee_mode 1
		.amdhsa_fp16_overflow 0
		.amdhsa_tg_split 0
		.amdhsa_exception_fp_ieee_invalid_op 0
		.amdhsa_exception_fp_denorm_src 0
		.amdhsa_exception_fp_ieee_div_zero 0
		.amdhsa_exception_fp_ieee_overflow 0
		.amdhsa_exception_fp_ieee_underflow 0
		.amdhsa_exception_fp_ieee_inexact 0
		.amdhsa_exception_int_div_zero 0
	.end_amdhsa_kernel
	.section	.text._Z24warp_reduce_valid_kernelIfLj63ELj7EENSt9enable_ifIXsr10test_utilsE35device_test_enabled_for_warp_size_vIXT1_EEEvE4typeEPT_S4_i,"axG",@progbits,_Z24warp_reduce_valid_kernelIfLj63ELj7EENSt9enable_ifIXsr10test_utilsE35device_test_enabled_for_warp_size_vIXT1_EEEvE4typeEPT_S4_i,comdat
.Lfunc_end71:
	.size	_Z24warp_reduce_valid_kernelIfLj63ELj7EENSt9enable_ifIXsr10test_utilsE35device_test_enabled_for_warp_size_vIXT1_EEEvE4typeEPT_S4_i, .Lfunc_end71-_Z24warp_reduce_valid_kernelIfLj63ELj7EENSt9enable_ifIXsr10test_utilsE35device_test_enabled_for_warp_size_vIXT1_EEEvE4typeEPT_S4_i
                                        ; -- End function
	.section	.AMDGPU.csdata,"",@progbits
; Kernel info:
; codeLenInByte = 432
; NumSgprs: 13
; NumVgprs: 8
; NumAgprs: 0
; TotalNumVgprs: 8
; ScratchSize: 0
; MemoryBound: 0
; FloatMode: 240
; IeeeMode: 1
; LDSByteSize: 252 bytes/workgroup (compile time only)
; SGPRBlocks: 1
; VGPRBlocks: 0
; NumSGPRsForWavesPerEU: 13
; NumVGPRsForWavesPerEU: 8
; AccumOffset: 8
; Occupancy: 8
; WaveLimiterHint : 0
; COMPUTE_PGM_RSRC2:SCRATCH_EN: 0
; COMPUTE_PGM_RSRC2:USER_SGPR: 6
; COMPUTE_PGM_RSRC2:TRAP_HANDLER: 0
; COMPUTE_PGM_RSRC2:TGID_X_EN: 1
; COMPUTE_PGM_RSRC2:TGID_Y_EN: 0
; COMPUTE_PGM_RSRC2:TGID_Z_EN: 0
; COMPUTE_PGM_RSRC2:TIDIG_COMP_CNT: 0
; COMPUTE_PGM_RSRC3_GFX90A:ACCUM_OFFSET: 1
; COMPUTE_PGM_RSRC3_GFX90A:TG_SPLIT: 0
	.section	.text._Z24warp_reduce_valid_kernelIfLj30ELj3EENSt9enable_ifIXsr10test_utilsE35device_test_enabled_for_warp_size_vIXT1_EEEvE4typeEPT_S4_i,"axG",@progbits,_Z24warp_reduce_valid_kernelIfLj30ELj3EENSt9enable_ifIXsr10test_utilsE35device_test_enabled_for_warp_size_vIXT1_EEEvE4typeEPT_S4_i,comdat
	.protected	_Z24warp_reduce_valid_kernelIfLj30ELj3EENSt9enable_ifIXsr10test_utilsE35device_test_enabled_for_warp_size_vIXT1_EEEvE4typeEPT_S4_i ; -- Begin function _Z24warp_reduce_valid_kernelIfLj30ELj3EENSt9enable_ifIXsr10test_utilsE35device_test_enabled_for_warp_size_vIXT1_EEEvE4typeEPT_S4_i
	.globl	_Z24warp_reduce_valid_kernelIfLj30ELj3EENSt9enable_ifIXsr10test_utilsE35device_test_enabled_for_warp_size_vIXT1_EEEvE4typeEPT_S4_i
	.p2align	8
	.type	_Z24warp_reduce_valid_kernelIfLj30ELj3EENSt9enable_ifIXsr10test_utilsE35device_test_enabled_for_warp_size_vIXT1_EEEvE4typeEPT_S4_i,@function
_Z24warp_reduce_valid_kernelIfLj30ELj3EENSt9enable_ifIXsr10test_utilsE35device_test_enabled_for_warp_size_vIXT1_EEEvE4typeEPT_S4_i: ; @_Z24warp_reduce_valid_kernelIfLj30ELj3EENSt9enable_ifIXsr10test_utilsE35device_test_enabled_for_warp_size_vIXT1_EEEvE4typeEPT_S4_i
; %bb.0:
	s_load_dword s8, s[4:5], 0x24
	s_load_dwordx4 s[0:3], s[4:5], 0x0
	s_load_dword s7, s[4:5], 0x10
	v_mov_b32_e32 v3, 0
	s_waitcnt lgkmcnt(0)
	s_and_b32 s4, s8, 0xffff
	s_mul_i32 s6, s6, s4
	v_add_u32_e32 v2, s6, v0
	v_lshlrev_b64 v[4:5], 2, v[2:3]
	v_mov_b32_e32 v1, s1
	v_add_co_u32_e32 v4, vcc, s0, v4
	v_addc_co_u32_e32 v5, vcc, v1, v5, vcc
	global_load_dword v1, v[4:5], off
	v_mbcnt_lo_u32_b32 v3, -1, 0
	s_mov_b32 s0, 0x55555556
	v_mul_u32_u24_e32 v4, 0x5556, v0
	v_mbcnt_hi_u32_b32 v6, -1, v3
	v_lshrrev_b32_e32 v3, 16, v4
	v_mul_hi_u32 v4, v6, s0
	v_mul_u32_u24_e32 v4, 3, v4
	v_sub_u32_e32 v6, v6, v4
	v_add_u32_e32 v7, 2, v6
	v_lshlrev_b32_e32 v4, 2, v6
	v_cmp_eq_u32_e32 vcc, 0, v6
	v_cmp_gt_u32_e64 s[0:1], s7, v7
	v_mul_u32_u24_e32 v5, 12, v3
	v_mad_u32_u24 v4, v3, 12, v4
	s_and_b64 s[0:1], vcc, s[0:1]
	s_waitcnt vmcnt(0)
	ds_write_b32 v4, v1
	; wave barrier
	s_and_saveexec_b64 s[4:5], s[0:1]
	s_cbranch_execz .LBB72_2
; %bb.1:
	ds_read_b32 v1, v4
	ds_read_b32 v7, v5 offset:8
	s_waitcnt lgkmcnt(0)
	v_add_f32_e32 v1, v1, v7
.LBB72_2:
	s_or_b64 exec, exec, s[4:5]
	; wave barrier
	s_and_saveexec_b64 s[4:5], s[0:1]
	s_cbranch_execz .LBB72_4
; %bb.3:
	ds_write_b32 v4, v1
.LBB72_4:
	s_or_b64 exec, exec, s[4:5]
	v_add_u32_e32 v6, 1, v6
	v_cmp_gt_u32_e64 s[0:1], s7, v6
	s_and_b64 s[0:1], vcc, s[0:1]
	; wave barrier
	s_and_saveexec_b64 s[4:5], s[0:1]
	s_cbranch_execz .LBB72_6
; %bb.5:
	ds_read_b32 v1, v4
	ds_read_b32 v5, v5 offset:4
	s_waitcnt lgkmcnt(0)
	v_add_f32_e32 v1, v1, v5
.LBB72_6:
	s_or_b64 exec, exec, s[4:5]
	; wave barrier
	s_and_saveexec_b64 s[4:5], s[0:1]
	s_cbranch_execz .LBB72_8
; %bb.7:
	ds_write_b32 v4, v1
.LBB72_8:
	s_or_b64 exec, exec, s[4:5]
	v_mul_lo_u16_e32 v3, 3, v3
	v_sub_u16_e32 v0, v0, v3
	v_cmp_eq_u16_e32 vcc, 0, v0
	; wave barrier
	s_and_saveexec_b64 s[0:1], vcc
	s_cbranch_execz .LBB72_10
; %bb.9:
	s_mov_b32 s0, 0xaaaaaaab
	v_mul_hi_u32 v0, v2, s0
	v_lshrrev_b32_e32 v2, 1, v0
	v_mov_b32_e32 v3, 0
	v_lshlrev_b64 v[2:3], 2, v[2:3]
	v_mov_b32_e32 v0, s3
	v_add_co_u32_e32 v2, vcc, s2, v2
	v_addc_co_u32_e32 v3, vcc, v0, v3, vcc
	global_store_dword v[2:3], v1, off
.LBB72_10:
	s_endpgm
	.section	.rodata,"a",@progbits
	.p2align	6, 0x0
	.amdhsa_kernel _Z24warp_reduce_valid_kernelIfLj30ELj3EENSt9enable_ifIXsr10test_utilsE35device_test_enabled_for_warp_size_vIXT1_EEEvE4typeEPT_S4_i
		.amdhsa_group_segment_fixed_size 120
		.amdhsa_private_segment_fixed_size 0
		.amdhsa_kernarg_size 280
		.amdhsa_user_sgpr_count 6
		.amdhsa_user_sgpr_private_segment_buffer 1
		.amdhsa_user_sgpr_dispatch_ptr 0
		.amdhsa_user_sgpr_queue_ptr 0
		.amdhsa_user_sgpr_kernarg_segment_ptr 1
		.amdhsa_user_sgpr_dispatch_id 0
		.amdhsa_user_sgpr_flat_scratch_init 0
		.amdhsa_user_sgpr_kernarg_preload_length 0
		.amdhsa_user_sgpr_kernarg_preload_offset 0
		.amdhsa_user_sgpr_private_segment_size 0
		.amdhsa_uses_dynamic_stack 0
		.amdhsa_system_sgpr_private_segment_wavefront_offset 0
		.amdhsa_system_sgpr_workgroup_id_x 1
		.amdhsa_system_sgpr_workgroup_id_y 0
		.amdhsa_system_sgpr_workgroup_id_z 0
		.amdhsa_system_sgpr_workgroup_info 0
		.amdhsa_system_vgpr_workitem_id 0
		.amdhsa_next_free_vgpr 8
		.amdhsa_next_free_sgpr 9
		.amdhsa_accum_offset 8
		.amdhsa_reserve_vcc 1
		.amdhsa_reserve_flat_scratch 0
		.amdhsa_float_round_mode_32 0
		.amdhsa_float_round_mode_16_64 0
		.amdhsa_float_denorm_mode_32 3
		.amdhsa_float_denorm_mode_16_64 3
		.amdhsa_dx10_clamp 1
		.amdhsa_ieee_mode 1
		.amdhsa_fp16_overflow 0
		.amdhsa_tg_split 0
		.amdhsa_exception_fp_ieee_invalid_op 0
		.amdhsa_exception_fp_denorm_src 0
		.amdhsa_exception_fp_ieee_div_zero 0
		.amdhsa_exception_fp_ieee_overflow 0
		.amdhsa_exception_fp_ieee_underflow 0
		.amdhsa_exception_fp_ieee_inexact 0
		.amdhsa_exception_int_div_zero 0
	.end_amdhsa_kernel
	.section	.text._Z24warp_reduce_valid_kernelIfLj30ELj3EENSt9enable_ifIXsr10test_utilsE35device_test_enabled_for_warp_size_vIXT1_EEEvE4typeEPT_S4_i,"axG",@progbits,_Z24warp_reduce_valid_kernelIfLj30ELj3EENSt9enable_ifIXsr10test_utilsE35device_test_enabled_for_warp_size_vIXT1_EEEvE4typeEPT_S4_i,comdat
.Lfunc_end72:
	.size	_Z24warp_reduce_valid_kernelIfLj30ELj3EENSt9enable_ifIXsr10test_utilsE35device_test_enabled_for_warp_size_vIXT1_EEEvE4typeEPT_S4_i, .Lfunc_end72-_Z24warp_reduce_valid_kernelIfLj30ELj3EENSt9enable_ifIXsr10test_utilsE35device_test_enabled_for_warp_size_vIXT1_EEEvE4typeEPT_S4_i
                                        ; -- End function
	.section	.AMDGPU.csdata,"",@progbits
; Kernel info:
; codeLenInByte = 380
; NumSgprs: 13
; NumVgprs: 8
; NumAgprs: 0
; TotalNumVgprs: 8
; ScratchSize: 0
; MemoryBound: 0
; FloatMode: 240
; IeeeMode: 1
; LDSByteSize: 120 bytes/workgroup (compile time only)
; SGPRBlocks: 1
; VGPRBlocks: 0
; NumSGPRsForWavesPerEU: 13
; NumVGPRsForWavesPerEU: 8
; AccumOffset: 8
; Occupancy: 8
; WaveLimiterHint : 0
; COMPUTE_PGM_RSRC2:SCRATCH_EN: 0
; COMPUTE_PGM_RSRC2:USER_SGPR: 6
; COMPUTE_PGM_RSRC2:TRAP_HANDLER: 0
; COMPUTE_PGM_RSRC2:TGID_X_EN: 1
; COMPUTE_PGM_RSRC2:TGID_Y_EN: 0
; COMPUTE_PGM_RSRC2:TGID_Z_EN: 0
; COMPUTE_PGM_RSRC2:TIDIG_COMP_CNT: 0
; COMPUTE_PGM_RSRC3_GFX90A:ACCUM_OFFSET: 1
; COMPUTE_PGM_RSRC3_GFX90A:TG_SPLIT: 0
	.section	.text._Z24warp_reduce_valid_kernelIfLj63ELj3EENSt9enable_ifIXsr10test_utilsE35device_test_enabled_for_warp_size_vIXT1_EEEvE4typeEPT_S4_i,"axG",@progbits,_Z24warp_reduce_valid_kernelIfLj63ELj3EENSt9enable_ifIXsr10test_utilsE35device_test_enabled_for_warp_size_vIXT1_EEEvE4typeEPT_S4_i,comdat
	.protected	_Z24warp_reduce_valid_kernelIfLj63ELj3EENSt9enable_ifIXsr10test_utilsE35device_test_enabled_for_warp_size_vIXT1_EEEvE4typeEPT_S4_i ; -- Begin function _Z24warp_reduce_valid_kernelIfLj63ELj3EENSt9enable_ifIXsr10test_utilsE35device_test_enabled_for_warp_size_vIXT1_EEEvE4typeEPT_S4_i
	.globl	_Z24warp_reduce_valid_kernelIfLj63ELj3EENSt9enable_ifIXsr10test_utilsE35device_test_enabled_for_warp_size_vIXT1_EEEvE4typeEPT_S4_i
	.p2align	8
	.type	_Z24warp_reduce_valid_kernelIfLj63ELj3EENSt9enable_ifIXsr10test_utilsE35device_test_enabled_for_warp_size_vIXT1_EEEvE4typeEPT_S4_i,@function
_Z24warp_reduce_valid_kernelIfLj63ELj3EENSt9enable_ifIXsr10test_utilsE35device_test_enabled_for_warp_size_vIXT1_EEEvE4typeEPT_S4_i: ; @_Z24warp_reduce_valid_kernelIfLj63ELj3EENSt9enable_ifIXsr10test_utilsE35device_test_enabled_for_warp_size_vIXT1_EEEvE4typeEPT_S4_i
; %bb.0:
	s_load_dword s8, s[4:5], 0x24
	s_load_dwordx4 s[0:3], s[4:5], 0x0
	s_load_dword s7, s[4:5], 0x10
	v_mov_b32_e32 v3, 0
	s_waitcnt lgkmcnt(0)
	s_and_b32 s4, s8, 0xffff
	s_mul_i32 s6, s6, s4
	v_add_u32_e32 v2, s6, v0
	v_lshlrev_b64 v[4:5], 2, v[2:3]
	v_mov_b32_e32 v1, s1
	v_add_co_u32_e32 v4, vcc, s0, v4
	v_addc_co_u32_e32 v5, vcc, v1, v5, vcc
	global_load_dword v1, v[4:5], off
	v_mbcnt_lo_u32_b32 v3, -1, 0
	s_mov_b32 s0, 0x55555556
	v_mul_u32_u24_e32 v4, 0x5556, v0
	v_mbcnt_hi_u32_b32 v6, -1, v3
	v_lshrrev_b32_e32 v3, 16, v4
	v_mul_hi_u32 v4, v6, s0
	v_mul_u32_u24_e32 v4, 3, v4
	v_sub_u32_e32 v6, v6, v4
	v_add_u32_e32 v7, 2, v6
	v_lshlrev_b32_e32 v4, 2, v6
	v_cmp_eq_u32_e32 vcc, 0, v6
	v_cmp_gt_u32_e64 s[0:1], s7, v7
	v_mul_u32_u24_e32 v5, 12, v3
	v_mad_u32_u24 v4, v3, 12, v4
	s_and_b64 s[0:1], vcc, s[0:1]
	s_waitcnt vmcnt(0)
	ds_write_b32 v4, v1
	; wave barrier
	s_and_saveexec_b64 s[4:5], s[0:1]
	s_cbranch_execz .LBB73_2
; %bb.1:
	ds_read_b32 v1, v4
	ds_read_b32 v7, v5 offset:8
	s_waitcnt lgkmcnt(0)
	v_add_f32_e32 v1, v1, v7
.LBB73_2:
	s_or_b64 exec, exec, s[4:5]
	; wave barrier
	s_and_saveexec_b64 s[4:5], s[0:1]
	s_cbranch_execz .LBB73_4
; %bb.3:
	ds_write_b32 v4, v1
.LBB73_4:
	s_or_b64 exec, exec, s[4:5]
	v_add_u32_e32 v6, 1, v6
	v_cmp_gt_u32_e64 s[0:1], s7, v6
	s_and_b64 s[0:1], vcc, s[0:1]
	; wave barrier
	s_and_saveexec_b64 s[4:5], s[0:1]
	s_cbranch_execz .LBB73_6
; %bb.5:
	ds_read_b32 v1, v4
	ds_read_b32 v5, v5 offset:4
	s_waitcnt lgkmcnt(0)
	v_add_f32_e32 v1, v1, v5
.LBB73_6:
	s_or_b64 exec, exec, s[4:5]
	; wave barrier
	s_and_saveexec_b64 s[4:5], s[0:1]
	s_cbranch_execz .LBB73_8
; %bb.7:
	ds_write_b32 v4, v1
.LBB73_8:
	s_or_b64 exec, exec, s[4:5]
	v_mul_lo_u16_e32 v3, 3, v3
	v_sub_u16_e32 v0, v0, v3
	v_cmp_eq_u16_e32 vcc, 0, v0
	; wave barrier
	s_and_saveexec_b64 s[0:1], vcc
	s_cbranch_execz .LBB73_10
; %bb.9:
	s_mov_b32 s0, 0xaaaaaaab
	v_mul_hi_u32 v0, v2, s0
	v_lshrrev_b32_e32 v2, 1, v0
	v_mov_b32_e32 v3, 0
	v_lshlrev_b64 v[2:3], 2, v[2:3]
	v_mov_b32_e32 v0, s3
	v_add_co_u32_e32 v2, vcc, s2, v2
	v_addc_co_u32_e32 v3, vcc, v0, v3, vcc
	global_store_dword v[2:3], v1, off
.LBB73_10:
	s_endpgm
	.section	.rodata,"a",@progbits
	.p2align	6, 0x0
	.amdhsa_kernel _Z24warp_reduce_valid_kernelIfLj63ELj3EENSt9enable_ifIXsr10test_utilsE35device_test_enabled_for_warp_size_vIXT1_EEEvE4typeEPT_S4_i
		.amdhsa_group_segment_fixed_size 252
		.amdhsa_private_segment_fixed_size 0
		.amdhsa_kernarg_size 280
		.amdhsa_user_sgpr_count 6
		.amdhsa_user_sgpr_private_segment_buffer 1
		.amdhsa_user_sgpr_dispatch_ptr 0
		.amdhsa_user_sgpr_queue_ptr 0
		.amdhsa_user_sgpr_kernarg_segment_ptr 1
		.amdhsa_user_sgpr_dispatch_id 0
		.amdhsa_user_sgpr_flat_scratch_init 0
		.amdhsa_user_sgpr_kernarg_preload_length 0
		.amdhsa_user_sgpr_kernarg_preload_offset 0
		.amdhsa_user_sgpr_private_segment_size 0
		.amdhsa_uses_dynamic_stack 0
		.amdhsa_system_sgpr_private_segment_wavefront_offset 0
		.amdhsa_system_sgpr_workgroup_id_x 1
		.amdhsa_system_sgpr_workgroup_id_y 0
		.amdhsa_system_sgpr_workgroup_id_z 0
		.amdhsa_system_sgpr_workgroup_info 0
		.amdhsa_system_vgpr_workitem_id 0
		.amdhsa_next_free_vgpr 8
		.amdhsa_next_free_sgpr 9
		.amdhsa_accum_offset 8
		.amdhsa_reserve_vcc 1
		.amdhsa_reserve_flat_scratch 0
		.amdhsa_float_round_mode_32 0
		.amdhsa_float_round_mode_16_64 0
		.amdhsa_float_denorm_mode_32 3
		.amdhsa_float_denorm_mode_16_64 3
		.amdhsa_dx10_clamp 1
		.amdhsa_ieee_mode 1
		.amdhsa_fp16_overflow 0
		.amdhsa_tg_split 0
		.amdhsa_exception_fp_ieee_invalid_op 0
		.amdhsa_exception_fp_denorm_src 0
		.amdhsa_exception_fp_ieee_div_zero 0
		.amdhsa_exception_fp_ieee_overflow 0
		.amdhsa_exception_fp_ieee_underflow 0
		.amdhsa_exception_fp_ieee_inexact 0
		.amdhsa_exception_int_div_zero 0
	.end_amdhsa_kernel
	.section	.text._Z24warp_reduce_valid_kernelIfLj63ELj3EENSt9enable_ifIXsr10test_utilsE35device_test_enabled_for_warp_size_vIXT1_EEEvE4typeEPT_S4_i,"axG",@progbits,_Z24warp_reduce_valid_kernelIfLj63ELj3EENSt9enable_ifIXsr10test_utilsE35device_test_enabled_for_warp_size_vIXT1_EEEvE4typeEPT_S4_i,comdat
.Lfunc_end73:
	.size	_Z24warp_reduce_valid_kernelIfLj63ELj3EENSt9enable_ifIXsr10test_utilsE35device_test_enabled_for_warp_size_vIXT1_EEEvE4typeEPT_S4_i, .Lfunc_end73-_Z24warp_reduce_valid_kernelIfLj63ELj3EENSt9enable_ifIXsr10test_utilsE35device_test_enabled_for_warp_size_vIXT1_EEEvE4typeEPT_S4_i
                                        ; -- End function
	.section	.AMDGPU.csdata,"",@progbits
; Kernel info:
; codeLenInByte = 380
; NumSgprs: 13
; NumVgprs: 8
; NumAgprs: 0
; TotalNumVgprs: 8
; ScratchSize: 0
; MemoryBound: 0
; FloatMode: 240
; IeeeMode: 1
; LDSByteSize: 252 bytes/workgroup (compile time only)
; SGPRBlocks: 1
; VGPRBlocks: 0
; NumSGPRsForWavesPerEU: 13
; NumVGPRsForWavesPerEU: 8
; AccumOffset: 8
; Occupancy: 8
; WaveLimiterHint : 0
; COMPUTE_PGM_RSRC2:SCRATCH_EN: 0
; COMPUTE_PGM_RSRC2:USER_SGPR: 6
; COMPUTE_PGM_RSRC2:TRAP_HANDLER: 0
; COMPUTE_PGM_RSRC2:TGID_X_EN: 1
; COMPUTE_PGM_RSRC2:TGID_Y_EN: 0
; COMPUTE_PGM_RSRC2:TGID_Z_EN: 0
; COMPUTE_PGM_RSRC2:TIDIG_COMP_CNT: 0
; COMPUTE_PGM_RSRC3_GFX90A:ACCUM_OFFSET: 1
; COMPUTE_PGM_RSRC3_GFX90A:TG_SPLIT: 0
	.section	.text._Z24warp_reduce_valid_kernelIiLj1ELj61EENSt9enable_ifIXsr10test_utilsE35device_test_enabled_for_warp_size_vIXT1_EEEvE4typeEPT_S4_i,"axG",@progbits,_Z24warp_reduce_valid_kernelIiLj1ELj61EENSt9enable_ifIXsr10test_utilsE35device_test_enabled_for_warp_size_vIXT1_EEEvE4typeEPT_S4_i,comdat
	.protected	_Z24warp_reduce_valid_kernelIiLj1ELj61EENSt9enable_ifIXsr10test_utilsE35device_test_enabled_for_warp_size_vIXT1_EEEvE4typeEPT_S4_i ; -- Begin function _Z24warp_reduce_valid_kernelIiLj1ELj61EENSt9enable_ifIXsr10test_utilsE35device_test_enabled_for_warp_size_vIXT1_EEEvE4typeEPT_S4_i
	.globl	_Z24warp_reduce_valid_kernelIiLj1ELj61EENSt9enable_ifIXsr10test_utilsE35device_test_enabled_for_warp_size_vIXT1_EEEvE4typeEPT_S4_i
	.p2align	8
	.type	_Z24warp_reduce_valid_kernelIiLj1ELj61EENSt9enable_ifIXsr10test_utilsE35device_test_enabled_for_warp_size_vIXT1_EEEvE4typeEPT_S4_i,@function
_Z24warp_reduce_valid_kernelIiLj1ELj61EENSt9enable_ifIXsr10test_utilsE35device_test_enabled_for_warp_size_vIXT1_EEEvE4typeEPT_S4_i: ; @_Z24warp_reduce_valid_kernelIiLj1ELj61EENSt9enable_ifIXsr10test_utilsE35device_test_enabled_for_warp_size_vIXT1_EEEvE4typeEPT_S4_i
; %bb.0:
	s_load_dword s8, s[4:5], 0x24
	s_load_dwordx4 s[0:3], s[4:5], 0x0
	s_load_dword s7, s[4:5], 0x10
	s_mov_b32 s5, 0
	v_mbcnt_lo_u32_b32 v0, -1, 0
	s_waitcnt lgkmcnt(0)
	s_and_b32 s4, s8, 0xffff
	s_mul_i32 s4, s6, s4
	s_lshl_b64 s[8:9], s[4:5], 2
	s_add_u32 s0, s0, s8
	s_addc_u32 s1, s1, s9
	s_load_dword s6, s[0:1], 0x0
	v_mbcnt_hi_u32_b32 v0, -1, v0
	s_mov_b32 s0, 0x4325c54
	v_mul_hi_u32 v1, v0, s0
	v_mul_u32_u24_e32 v1, 61, v1
	v_sub_u32_e32 v1, v0, v1
	v_lshlrev_b32_e32 v0, 2, v1
	s_waitcnt lgkmcnt(0)
	v_mov_b32_e32 v2, s6
	ds_write_b32 v0, v2
	v_add_u32_e32 v2, 32, v1
	v_cmp_gt_u32_e32 vcc, 29, v1
	v_cmp_gt_u32_e64 s[0:1], s7, v2
	s_and_b64 s[0:1], vcc, s[0:1]
	v_readfirstlane_b32 s5, v1
	v_cndmask_b32_e64 v1, 0, 1, s[0:1]
	v_cmp_ne_u32_e32 vcc, 1, v1
	s_and_b64 s[0:1], vcc, exec
	; wave barrier
	s_cbranch_scc1 .LBB74_2
; %bb.1:
	ds_read2_b32 v[2:3], v0 offset1:32
	s_waitcnt lgkmcnt(0)
	v_add_u32_e32 v1, v3, v2
	s_branch .LBB74_3
.LBB74_2:
	v_mov_b32_e32 v1, s6
.LBB74_3:
	s_and_b64 vcc, exec, vcc
	; wave barrier
	s_cbranch_vccnz .LBB74_5
; %bb.4:
	ds_write_b32 v0, v1
.LBB74_5:
	s_add_i32 s6, s5, 16
	s_cmp_lt_u32 s5, 16
	s_cselect_b64 s[0:1], -1, 0
	s_cmp_lt_u32 s6, s7
	s_cselect_b64 s[8:9], -1, 0
	s_and_b64 s[8:9], s[0:1], s[8:9]
	v_cndmask_b32_e64 v2, 0, 1, s[8:9]
	v_cmp_ne_u32_e64 s[0:1], 1, v2
	s_andn2_b64 vcc, exec, s[8:9]
	; wave barrier
	s_cbranch_vccnz .LBB74_7
; %bb.6:
	ds_read2_b32 v[2:3], v0 offset1:16
	s_waitcnt lgkmcnt(0)
	v_add_u32_e32 v1, v3, v2
.LBB74_7:
	s_and_b64 vcc, exec, s[0:1]
	; wave barrier
	s_cbranch_vccnz .LBB74_9
; %bb.8:
	ds_write_b32 v0, v1
.LBB74_9:
	s_add_i32 s6, s5, 8
	s_cmp_lt_u32 s5, 8
	s_cselect_b64 s[0:1], -1, 0
	s_cmp_lt_u32 s6, s7
	s_cselect_b64 s[8:9], -1, 0
	s_and_b64 s[8:9], s[0:1], s[8:9]
	v_cndmask_b32_e64 v2, 0, 1, s[8:9]
	v_cmp_ne_u32_e64 s[0:1], 1, v2
	s_andn2_b64 vcc, exec, s[8:9]
	; wave barrier
	s_cbranch_vccnz .LBB74_11
; %bb.10:
	ds_read2_b32 v[2:3], v0 offset1:8
	s_waitcnt lgkmcnt(0)
	v_add_u32_e32 v1, v3, v2
.LBB74_11:
	s_and_b64 vcc, exec, s[0:1]
	;; [unrolled: 22-line block ×4, first 2 shown]
	; wave barrier
	s_cbranch_vccnz .LBB74_21
; %bb.20:
	ds_write_b32 v0, v1
.LBB74_21:
	s_add_i32 s6, s5, 1
	s_cmp_eq_u32 s5, 0
	s_cselect_b64 s[0:1], -1, 0
	s_cmp_lt_u32 s6, s7
	s_cselect_b64 s[6:7], -1, 0
	s_and_b64 s[6:7], s[0:1], s[6:7]
	v_cndmask_b32_e64 v2, 0, 1, s[6:7]
	v_cmp_ne_u32_e64 s[0:1], 1, v2
	s_andn2_b64 vcc, exec, s[6:7]
	; wave barrier
	s_cbranch_vccnz .LBB74_23
; %bb.22:
	v_mov_b32_e32 v1, 0
	ds_read_b32 v2, v0
	ds_read_b32 v1, v1 offset:4
	s_waitcnt lgkmcnt(0)
	v_add_u32_e32 v1, v1, v2
.LBB74_23:
	s_and_b64 vcc, exec, s[0:1]
	; wave barrier
	s_cbranch_vccnz .LBB74_25
; %bb.24:
	ds_write_b32 v0, v1
.LBB74_25:
	; wave barrier
	s_branch .LBB74_27
; %bb.26:
	s_endpgm
.LBB74_27:
	s_mul_hi_u32 s0, s4, 0x4325c53f
	s_lshr_b32 s0, s0, 2
	s_and_b32 s0, s0, 0x1ffffffc
	v_mov_b32_e32 v0, s0
	global_store_dword v0, v1, s[2:3]
	s_endpgm
	.section	.rodata,"a",@progbits
	.p2align	6, 0x0
	.amdhsa_kernel _Z24warp_reduce_valid_kernelIiLj1ELj61EENSt9enable_ifIXsr10test_utilsE35device_test_enabled_for_warp_size_vIXT1_EEEvE4typeEPT_S4_i
		.amdhsa_group_segment_fixed_size 244
		.amdhsa_private_segment_fixed_size 0
		.amdhsa_kernarg_size 280
		.amdhsa_user_sgpr_count 6
		.amdhsa_user_sgpr_private_segment_buffer 1
		.amdhsa_user_sgpr_dispatch_ptr 0
		.amdhsa_user_sgpr_queue_ptr 0
		.amdhsa_user_sgpr_kernarg_segment_ptr 1
		.amdhsa_user_sgpr_dispatch_id 0
		.amdhsa_user_sgpr_flat_scratch_init 0
		.amdhsa_user_sgpr_kernarg_preload_length 0
		.amdhsa_user_sgpr_kernarg_preload_offset 0
		.amdhsa_user_sgpr_private_segment_size 0
		.amdhsa_uses_dynamic_stack 0
		.amdhsa_system_sgpr_private_segment_wavefront_offset 0
		.amdhsa_system_sgpr_workgroup_id_x 1
		.amdhsa_system_sgpr_workgroup_id_y 0
		.amdhsa_system_sgpr_workgroup_id_z 0
		.amdhsa_system_sgpr_workgroup_info 0
		.amdhsa_system_vgpr_workitem_id 0
		.amdhsa_next_free_vgpr 4
		.amdhsa_next_free_sgpr 10
		.amdhsa_accum_offset 4
		.amdhsa_reserve_vcc 1
		.amdhsa_reserve_flat_scratch 0
		.amdhsa_float_round_mode_32 0
		.amdhsa_float_round_mode_16_64 0
		.amdhsa_float_denorm_mode_32 3
		.amdhsa_float_denorm_mode_16_64 3
		.amdhsa_dx10_clamp 1
		.amdhsa_ieee_mode 1
		.amdhsa_fp16_overflow 0
		.amdhsa_tg_split 0
		.amdhsa_exception_fp_ieee_invalid_op 0
		.amdhsa_exception_fp_denorm_src 0
		.amdhsa_exception_fp_ieee_div_zero 0
		.amdhsa_exception_fp_ieee_overflow 0
		.amdhsa_exception_fp_ieee_underflow 0
		.amdhsa_exception_fp_ieee_inexact 0
		.amdhsa_exception_int_div_zero 0
	.end_amdhsa_kernel
	.section	.text._Z24warp_reduce_valid_kernelIiLj1ELj61EENSt9enable_ifIXsr10test_utilsE35device_test_enabled_for_warp_size_vIXT1_EEEvE4typeEPT_S4_i,"axG",@progbits,_Z24warp_reduce_valid_kernelIiLj1ELj61EENSt9enable_ifIXsr10test_utilsE35device_test_enabled_for_warp_size_vIXT1_EEEvE4typeEPT_S4_i,comdat
.Lfunc_end74:
	.size	_Z24warp_reduce_valid_kernelIiLj1ELj61EENSt9enable_ifIXsr10test_utilsE35device_test_enabled_for_warp_size_vIXT1_EEEvE4typeEPT_S4_i, .Lfunc_end74-_Z24warp_reduce_valid_kernelIiLj1ELj61EENSt9enable_ifIXsr10test_utilsE35device_test_enabled_for_warp_size_vIXT1_EEEvE4typeEPT_S4_i
                                        ; -- End function
	.section	.AMDGPU.csdata,"",@progbits
; Kernel info:
; codeLenInByte = 664
; NumSgprs: 14
; NumVgprs: 4
; NumAgprs: 0
; TotalNumVgprs: 4
; ScratchSize: 0
; MemoryBound: 0
; FloatMode: 240
; IeeeMode: 1
; LDSByteSize: 244 bytes/workgroup (compile time only)
; SGPRBlocks: 1
; VGPRBlocks: 0
; NumSGPRsForWavesPerEU: 14
; NumVGPRsForWavesPerEU: 4
; AccumOffset: 4
; Occupancy: 8
; WaveLimiterHint : 0
; COMPUTE_PGM_RSRC2:SCRATCH_EN: 0
; COMPUTE_PGM_RSRC2:USER_SGPR: 6
; COMPUTE_PGM_RSRC2:TRAP_HANDLER: 0
; COMPUTE_PGM_RSRC2:TGID_X_EN: 1
; COMPUTE_PGM_RSRC2:TGID_Y_EN: 0
; COMPUTE_PGM_RSRC2:TGID_Z_EN: 0
; COMPUTE_PGM_RSRC2:TIDIG_COMP_CNT: 0
; COMPUTE_PGM_RSRC3_GFX90A:ACCUM_OFFSET: 0
; COMPUTE_PGM_RSRC3_GFX90A:TG_SPLIT: 0
	.section	.text._Z24warp_reduce_valid_kernelIiLj61ELj61EENSt9enable_ifIXsr10test_utilsE35device_test_enabled_for_warp_size_vIXT1_EEEvE4typeEPT_S4_i,"axG",@progbits,_Z24warp_reduce_valid_kernelIiLj61ELj61EENSt9enable_ifIXsr10test_utilsE35device_test_enabled_for_warp_size_vIXT1_EEEvE4typeEPT_S4_i,comdat
	.protected	_Z24warp_reduce_valid_kernelIiLj61ELj61EENSt9enable_ifIXsr10test_utilsE35device_test_enabled_for_warp_size_vIXT1_EEEvE4typeEPT_S4_i ; -- Begin function _Z24warp_reduce_valid_kernelIiLj61ELj61EENSt9enable_ifIXsr10test_utilsE35device_test_enabled_for_warp_size_vIXT1_EEEvE4typeEPT_S4_i
	.globl	_Z24warp_reduce_valid_kernelIiLj61ELj61EENSt9enable_ifIXsr10test_utilsE35device_test_enabled_for_warp_size_vIXT1_EEEvE4typeEPT_S4_i
	.p2align	8
	.type	_Z24warp_reduce_valid_kernelIiLj61ELj61EENSt9enable_ifIXsr10test_utilsE35device_test_enabled_for_warp_size_vIXT1_EEEvE4typeEPT_S4_i,@function
_Z24warp_reduce_valid_kernelIiLj61ELj61EENSt9enable_ifIXsr10test_utilsE35device_test_enabled_for_warp_size_vIXT1_EEEvE4typeEPT_S4_i: ; @_Z24warp_reduce_valid_kernelIiLj61ELj61EENSt9enable_ifIXsr10test_utilsE35device_test_enabled_for_warp_size_vIXT1_EEEvE4typeEPT_S4_i
; %bb.0:
	s_load_dword s8, s[4:5], 0x24
	s_load_dwordx4 s[0:3], s[4:5], 0x0
	s_load_dword s7, s[4:5], 0x10
	v_mov_b32_e32 v3, 0
	s_waitcnt lgkmcnt(0)
	s_and_b32 s4, s8, 0xffff
	s_mul_i32 s6, s6, s4
	v_add_u32_e32 v2, s6, v0
	v_lshlrev_b64 v[4:5], 2, v[2:3]
	v_mov_b32_e32 v1, s1
	v_add_co_u32_e32 v4, vcc, s0, v4
	v_addc_co_u32_e32 v5, vcc, v1, v5, vcc
	global_load_dword v1, v[4:5], off
	v_mbcnt_lo_u32_b32 v3, -1, 0
	s_mov_b32 s1, 0x4325c54
	v_mul_u32_u24_e32 v4, 0x433, v0
	v_mbcnt_hi_u32_b32 v5, -1, v3
	v_lshrrev_b32_e32 v3, 16, v4
	v_mul_hi_u32 v4, v5, s1
	v_mul_u32_u24_e32 v4, 61, v4
	v_sub_u32_e32 v5, v5, v4
	s_movk_i32 s0, 0xf4
	v_lshlrev_b32_e32 v4, 2, v5
	v_add_u32_e32 v6, 32, v5
	v_cmp_gt_u32_e32 vcc, 29, v5
	v_mad_u32_u24 v4, v3, s0, v4
	v_cmp_gt_u32_e64 s[0:1], s7, v6
	s_and_b64 s[0:1], vcc, s[0:1]
	s_waitcnt vmcnt(0)
	ds_write_b32 v4, v1
	; wave barrier
	s_and_saveexec_b64 s[4:5], s[0:1]
	s_cbranch_execz .LBB75_2
; %bb.1:
	ds_read2_b32 v[6:7], v4 offset1:32
	s_waitcnt lgkmcnt(0)
	v_add_u32_e32 v1, v7, v6
.LBB75_2:
	s_or_b64 exec, exec, s[4:5]
	; wave barrier
	s_and_saveexec_b64 s[4:5], s[0:1]
	s_cbranch_execz .LBB75_4
; %bb.3:
	ds_write_b32 v4, v1
.LBB75_4:
	s_or_b64 exec, exec, s[4:5]
	v_add_u32_e32 v6, 16, v5
	v_cmp_gt_u32_e32 vcc, 16, v5
	v_cmp_gt_u32_e64 s[0:1], s7, v6
	s_and_b64 s[0:1], vcc, s[0:1]
	; wave barrier
	s_and_saveexec_b64 s[4:5], s[0:1]
	s_cbranch_execz .LBB75_6
; %bb.5:
	ds_read2_b32 v[6:7], v4 offset1:16
	s_waitcnt lgkmcnt(0)
	v_add_u32_e32 v1, v7, v6
.LBB75_6:
	s_or_b64 exec, exec, s[4:5]
	; wave barrier
	s_and_saveexec_b64 s[4:5], s[0:1]
	s_cbranch_execz .LBB75_8
; %bb.7:
	ds_write_b32 v4, v1
.LBB75_8:
	s_or_b64 exec, exec, s[4:5]
	v_add_u32_e32 v6, 8, v5
	v_cmp_gt_u32_e32 vcc, 8, v5
	v_cmp_gt_u32_e64 s[0:1], s7, v6
	s_and_b64 s[0:1], vcc, s[0:1]
	;; [unrolled: 20-line block ×4, first 2 shown]
	; wave barrier
	s_and_saveexec_b64 s[4:5], s[0:1]
	s_cbranch_execz .LBB75_18
; %bb.17:
	ds_read2_b32 v[6:7], v4 offset1:2
	s_waitcnt lgkmcnt(0)
	v_add_u32_e32 v1, v7, v6
.LBB75_18:
	s_or_b64 exec, exec, s[4:5]
	; wave barrier
	s_and_saveexec_b64 s[4:5], s[0:1]
	s_cbranch_execz .LBB75_20
; %bb.19:
	ds_write_b32 v4, v1
.LBB75_20:
	s_or_b64 exec, exec, s[4:5]
	v_add_u32_e32 v6, 1, v5
	v_cmp_eq_u32_e32 vcc, 0, v5
	v_cmp_gt_u32_e64 s[0:1], s7, v6
	s_and_b64 s[0:1], vcc, s[0:1]
	; wave barrier
	s_and_saveexec_b64 s[4:5], s[0:1]
	s_cbranch_execz .LBB75_22
; %bb.21:
	v_mul_u32_u24_e32 v1, 0xf4, v3
	ds_read_b32 v5, v4
	ds_read_b32 v1, v1 offset:4
	s_waitcnt lgkmcnt(0)
	v_add_u32_e32 v1, v1, v5
.LBB75_22:
	s_or_b64 exec, exec, s[4:5]
	; wave barrier
	s_and_saveexec_b64 s[4:5], s[0:1]
	s_cbranch_execz .LBB75_24
; %bb.23:
	ds_write_b32 v4, v1
.LBB75_24:
	s_or_b64 exec, exec, s[4:5]
	v_mul_lo_u16_e32 v3, 61, v3
	v_sub_u16_e32 v0, v0, v3
	v_cmp_eq_u16_e32 vcc, 0, v0
	; wave barrier
	s_and_saveexec_b64 s[0:1], vcc
	s_cbranch_execz .LBB75_26
; %bb.25:
	s_mov_b32 s0, 0x4325c53f
	v_mul_hi_u32 v0, v2, s0
	v_lshrrev_b32_e32 v0, 2, v0
	v_and_b32_e32 v0, 0x1ffffffc, v0
	global_store_dword v0, v1, s[2:3]
.LBB75_26:
	s_endpgm
	.section	.rodata,"a",@progbits
	.p2align	6, 0x0
	.amdhsa_kernel _Z24warp_reduce_valid_kernelIiLj61ELj61EENSt9enable_ifIXsr10test_utilsE35device_test_enabled_for_warp_size_vIXT1_EEEvE4typeEPT_S4_i
		.amdhsa_group_segment_fixed_size 244
		.amdhsa_private_segment_fixed_size 0
		.amdhsa_kernarg_size 280
		.amdhsa_user_sgpr_count 6
		.amdhsa_user_sgpr_private_segment_buffer 1
		.amdhsa_user_sgpr_dispatch_ptr 0
		.amdhsa_user_sgpr_queue_ptr 0
		.amdhsa_user_sgpr_kernarg_segment_ptr 1
		.amdhsa_user_sgpr_dispatch_id 0
		.amdhsa_user_sgpr_flat_scratch_init 0
		.amdhsa_user_sgpr_kernarg_preload_length 0
		.amdhsa_user_sgpr_kernarg_preload_offset 0
		.amdhsa_user_sgpr_private_segment_size 0
		.amdhsa_uses_dynamic_stack 0
		.amdhsa_system_sgpr_private_segment_wavefront_offset 0
		.amdhsa_system_sgpr_workgroup_id_x 1
		.amdhsa_system_sgpr_workgroup_id_y 0
		.amdhsa_system_sgpr_workgroup_id_z 0
		.amdhsa_system_sgpr_workgroup_info 0
		.amdhsa_system_vgpr_workitem_id 0
		.amdhsa_next_free_vgpr 8
		.amdhsa_next_free_sgpr 9
		.amdhsa_accum_offset 8
		.amdhsa_reserve_vcc 1
		.amdhsa_reserve_flat_scratch 0
		.amdhsa_float_round_mode_32 0
		.amdhsa_float_round_mode_16_64 0
		.amdhsa_float_denorm_mode_32 3
		.amdhsa_float_denorm_mode_16_64 3
		.amdhsa_dx10_clamp 1
		.amdhsa_ieee_mode 1
		.amdhsa_fp16_overflow 0
		.amdhsa_tg_split 0
		.amdhsa_exception_fp_ieee_invalid_op 0
		.amdhsa_exception_fp_denorm_src 0
		.amdhsa_exception_fp_ieee_div_zero 0
		.amdhsa_exception_fp_ieee_overflow 0
		.amdhsa_exception_fp_ieee_underflow 0
		.amdhsa_exception_fp_ieee_inexact 0
		.amdhsa_exception_int_div_zero 0
	.end_amdhsa_kernel
	.section	.text._Z24warp_reduce_valid_kernelIiLj61ELj61EENSt9enable_ifIXsr10test_utilsE35device_test_enabled_for_warp_size_vIXT1_EEEvE4typeEPT_S4_i,"axG",@progbits,_Z24warp_reduce_valid_kernelIiLj61ELj61EENSt9enable_ifIXsr10test_utilsE35device_test_enabled_for_warp_size_vIXT1_EEEvE4typeEPT_S4_i,comdat
.Lfunc_end75:
	.size	_Z24warp_reduce_valid_kernelIiLj61ELj61EENSt9enable_ifIXsr10test_utilsE35device_test_enabled_for_warp_size_vIXT1_EEEvE4typeEPT_S4_i, .Lfunc_end75-_Z24warp_reduce_valid_kernelIiLj61ELj61EENSt9enable_ifIXsr10test_utilsE35device_test_enabled_for_warp_size_vIXT1_EEEvE4typeEPT_S4_i
                                        ; -- End function
	.section	.AMDGPU.csdata,"",@progbits
; Kernel info:
; codeLenInByte = 640
; NumSgprs: 13
; NumVgprs: 8
; NumAgprs: 0
; TotalNumVgprs: 8
; ScratchSize: 0
; MemoryBound: 0
; FloatMode: 240
; IeeeMode: 1
; LDSByteSize: 244 bytes/workgroup (compile time only)
; SGPRBlocks: 1
; VGPRBlocks: 0
; NumSGPRsForWavesPerEU: 13
; NumVGPRsForWavesPerEU: 8
; AccumOffset: 8
; Occupancy: 8
; WaveLimiterHint : 0
; COMPUTE_PGM_RSRC2:SCRATCH_EN: 0
; COMPUTE_PGM_RSRC2:USER_SGPR: 6
; COMPUTE_PGM_RSRC2:TRAP_HANDLER: 0
; COMPUTE_PGM_RSRC2:TGID_X_EN: 1
; COMPUTE_PGM_RSRC2:TGID_Y_EN: 0
; COMPUTE_PGM_RSRC2:TGID_Z_EN: 0
; COMPUTE_PGM_RSRC2:TIDIG_COMP_CNT: 0
; COMPUTE_PGM_RSRC3_GFX90A:ACCUM_OFFSET: 1
; COMPUTE_PGM_RSRC3_GFX90A:TG_SPLIT: 0
	.section	.text._Z24warp_reduce_valid_kernelIiLj1ELj37EENSt9enable_ifIXsr10test_utilsE35device_test_enabled_for_warp_size_vIXT1_EEEvE4typeEPT_S4_i,"axG",@progbits,_Z24warp_reduce_valid_kernelIiLj1ELj37EENSt9enable_ifIXsr10test_utilsE35device_test_enabled_for_warp_size_vIXT1_EEEvE4typeEPT_S4_i,comdat
	.protected	_Z24warp_reduce_valid_kernelIiLj1ELj37EENSt9enable_ifIXsr10test_utilsE35device_test_enabled_for_warp_size_vIXT1_EEEvE4typeEPT_S4_i ; -- Begin function _Z24warp_reduce_valid_kernelIiLj1ELj37EENSt9enable_ifIXsr10test_utilsE35device_test_enabled_for_warp_size_vIXT1_EEEvE4typeEPT_S4_i
	.globl	_Z24warp_reduce_valid_kernelIiLj1ELj37EENSt9enable_ifIXsr10test_utilsE35device_test_enabled_for_warp_size_vIXT1_EEEvE4typeEPT_S4_i
	.p2align	8
	.type	_Z24warp_reduce_valid_kernelIiLj1ELj37EENSt9enable_ifIXsr10test_utilsE35device_test_enabled_for_warp_size_vIXT1_EEEvE4typeEPT_S4_i,@function
_Z24warp_reduce_valid_kernelIiLj1ELj37EENSt9enable_ifIXsr10test_utilsE35device_test_enabled_for_warp_size_vIXT1_EEEvE4typeEPT_S4_i: ; @_Z24warp_reduce_valid_kernelIiLj1ELj37EENSt9enable_ifIXsr10test_utilsE35device_test_enabled_for_warp_size_vIXT1_EEEvE4typeEPT_S4_i
; %bb.0:
	s_load_dword s8, s[4:5], 0x24
	s_load_dwordx4 s[0:3], s[4:5], 0x0
	s_load_dword s7, s[4:5], 0x10
	s_mov_b32 s5, 0
	v_mbcnt_lo_u32_b32 v0, -1, 0
	s_waitcnt lgkmcnt(0)
	s_and_b32 s4, s8, 0xffff
	s_mul_i32 s4, s6, s4
	s_lshl_b64 s[8:9], s[4:5], 2
	s_add_u32 s0, s0, s8
	s_addc_u32 s1, s1, s9
	s_load_dword s6, s[0:1], 0x0
	v_mbcnt_hi_u32_b32 v0, -1, v0
	s_mov_b32 s0, 0x6eb3e46
	v_mul_hi_u32 v1, v0, s0
	v_mul_u32_u24_e32 v1, 37, v1
	v_sub_u32_e32 v1, v0, v1
	v_lshlrev_b32_e32 v0, 2, v1
	s_waitcnt lgkmcnt(0)
	v_mov_b32_e32 v2, s6
	ds_write_b32 v0, v2
	v_add_u32_e32 v2, 32, v1
	v_cmp_gt_u32_e32 vcc, 5, v1
	v_cmp_gt_u32_e64 s[0:1], s7, v2
	s_and_b64 s[0:1], vcc, s[0:1]
	v_readfirstlane_b32 s5, v1
	v_cndmask_b32_e64 v1, 0, 1, s[0:1]
	v_cmp_ne_u32_e32 vcc, 1, v1
	s_and_b64 s[0:1], vcc, exec
	; wave barrier
	s_cbranch_scc1 .LBB76_2
; %bb.1:
	ds_read2_b32 v[2:3], v0 offset1:32
	s_waitcnt lgkmcnt(0)
	v_add_u32_e32 v1, v3, v2
	s_branch .LBB76_3
.LBB76_2:
	v_mov_b32_e32 v1, s6
.LBB76_3:
	s_and_b64 vcc, exec, vcc
	; wave barrier
	s_cbranch_vccnz .LBB76_5
; %bb.4:
	ds_write_b32 v0, v1
.LBB76_5:
	s_add_i32 s6, s5, 16
	s_cmp_lt_u32 s5, 16
	s_cselect_b64 s[0:1], -1, 0
	s_cmp_lt_u32 s6, s7
	s_cselect_b64 s[8:9], -1, 0
	s_and_b64 s[8:9], s[0:1], s[8:9]
	v_cndmask_b32_e64 v2, 0, 1, s[8:9]
	v_cmp_ne_u32_e64 s[0:1], 1, v2
	s_andn2_b64 vcc, exec, s[8:9]
	; wave barrier
	s_cbranch_vccnz .LBB76_7
; %bb.6:
	ds_read2_b32 v[2:3], v0 offset1:16
	s_waitcnt lgkmcnt(0)
	v_add_u32_e32 v1, v3, v2
.LBB76_7:
	s_and_b64 vcc, exec, s[0:1]
	; wave barrier
	s_cbranch_vccnz .LBB76_9
; %bb.8:
	ds_write_b32 v0, v1
.LBB76_9:
	s_add_i32 s6, s5, 8
	s_cmp_lt_u32 s5, 8
	s_cselect_b64 s[0:1], -1, 0
	s_cmp_lt_u32 s6, s7
	s_cselect_b64 s[8:9], -1, 0
	s_and_b64 s[8:9], s[0:1], s[8:9]
	v_cndmask_b32_e64 v2, 0, 1, s[8:9]
	v_cmp_ne_u32_e64 s[0:1], 1, v2
	s_andn2_b64 vcc, exec, s[8:9]
	; wave barrier
	s_cbranch_vccnz .LBB76_11
; %bb.10:
	ds_read2_b32 v[2:3], v0 offset1:8
	s_waitcnt lgkmcnt(0)
	v_add_u32_e32 v1, v3, v2
.LBB76_11:
	s_and_b64 vcc, exec, s[0:1]
	;; [unrolled: 22-line block ×4, first 2 shown]
	; wave barrier
	s_cbranch_vccnz .LBB76_21
; %bb.20:
	ds_write_b32 v0, v1
.LBB76_21:
	s_add_i32 s6, s5, 1
	s_cmp_eq_u32 s5, 0
	s_cselect_b64 s[0:1], -1, 0
	s_cmp_lt_u32 s6, s7
	s_cselect_b64 s[6:7], -1, 0
	s_and_b64 s[6:7], s[0:1], s[6:7]
	v_cndmask_b32_e64 v2, 0, 1, s[6:7]
	v_cmp_ne_u32_e64 s[0:1], 1, v2
	s_andn2_b64 vcc, exec, s[6:7]
	; wave barrier
	s_cbranch_vccnz .LBB76_23
; %bb.22:
	v_mov_b32_e32 v1, 0
	ds_read_b32 v2, v0
	ds_read_b32 v1, v1 offset:4
	s_waitcnt lgkmcnt(0)
	v_add_u32_e32 v1, v1, v2
.LBB76_23:
	s_and_b64 vcc, exec, s[0:1]
	; wave barrier
	s_cbranch_vccnz .LBB76_25
; %bb.24:
	ds_write_b32 v0, v1
.LBB76_25:
	; wave barrier
	s_branch .LBB76_27
; %bb.26:
	s_endpgm
.LBB76_27:
	s_mul_hi_u32 s0, s4, 0xbacf914d
	s_sub_i32 s1, s4, s0
	s_lshr_b32 s1, s1, 1
	s_add_i32 s1, s1, s0
	s_lshr_b32 s0, s1, 3
	s_and_b32 s0, s0, 0x1ffffffc
	v_mov_b32_e32 v0, s0
	global_store_dword v0, v1, s[2:3]
	s_endpgm
	.section	.rodata,"a",@progbits
	.p2align	6, 0x0
	.amdhsa_kernel _Z24warp_reduce_valid_kernelIiLj1ELj37EENSt9enable_ifIXsr10test_utilsE35device_test_enabled_for_warp_size_vIXT1_EEEvE4typeEPT_S4_i
		.amdhsa_group_segment_fixed_size 148
		.amdhsa_private_segment_fixed_size 0
		.amdhsa_kernarg_size 280
		.amdhsa_user_sgpr_count 6
		.amdhsa_user_sgpr_private_segment_buffer 1
		.amdhsa_user_sgpr_dispatch_ptr 0
		.amdhsa_user_sgpr_queue_ptr 0
		.amdhsa_user_sgpr_kernarg_segment_ptr 1
		.amdhsa_user_sgpr_dispatch_id 0
		.amdhsa_user_sgpr_flat_scratch_init 0
		.amdhsa_user_sgpr_kernarg_preload_length 0
		.amdhsa_user_sgpr_kernarg_preload_offset 0
		.amdhsa_user_sgpr_private_segment_size 0
		.amdhsa_uses_dynamic_stack 0
		.amdhsa_system_sgpr_private_segment_wavefront_offset 0
		.amdhsa_system_sgpr_workgroup_id_x 1
		.amdhsa_system_sgpr_workgroup_id_y 0
		.amdhsa_system_sgpr_workgroup_id_z 0
		.amdhsa_system_sgpr_workgroup_info 0
		.amdhsa_system_vgpr_workitem_id 0
		.amdhsa_next_free_vgpr 4
		.amdhsa_next_free_sgpr 10
		.amdhsa_accum_offset 4
		.amdhsa_reserve_vcc 1
		.amdhsa_reserve_flat_scratch 0
		.amdhsa_float_round_mode_32 0
		.amdhsa_float_round_mode_16_64 0
		.amdhsa_float_denorm_mode_32 3
		.amdhsa_float_denorm_mode_16_64 3
		.amdhsa_dx10_clamp 1
		.amdhsa_ieee_mode 1
		.amdhsa_fp16_overflow 0
		.amdhsa_tg_split 0
		.amdhsa_exception_fp_ieee_invalid_op 0
		.amdhsa_exception_fp_denorm_src 0
		.amdhsa_exception_fp_ieee_div_zero 0
		.amdhsa_exception_fp_ieee_overflow 0
		.amdhsa_exception_fp_ieee_underflow 0
		.amdhsa_exception_fp_ieee_inexact 0
		.amdhsa_exception_int_div_zero 0
	.end_amdhsa_kernel
	.section	.text._Z24warp_reduce_valid_kernelIiLj1ELj37EENSt9enable_ifIXsr10test_utilsE35device_test_enabled_for_warp_size_vIXT1_EEEvE4typeEPT_S4_i,"axG",@progbits,_Z24warp_reduce_valid_kernelIiLj1ELj37EENSt9enable_ifIXsr10test_utilsE35device_test_enabled_for_warp_size_vIXT1_EEEvE4typeEPT_S4_i,comdat
.Lfunc_end76:
	.size	_Z24warp_reduce_valid_kernelIiLj1ELj37EENSt9enable_ifIXsr10test_utilsE35device_test_enabled_for_warp_size_vIXT1_EEEvE4typeEPT_S4_i, .Lfunc_end76-_Z24warp_reduce_valid_kernelIiLj1ELj37EENSt9enable_ifIXsr10test_utilsE35device_test_enabled_for_warp_size_vIXT1_EEEvE4typeEPT_S4_i
                                        ; -- End function
	.section	.AMDGPU.csdata,"",@progbits
; Kernel info:
; codeLenInByte = 676
; NumSgprs: 14
; NumVgprs: 4
; NumAgprs: 0
; TotalNumVgprs: 4
; ScratchSize: 0
; MemoryBound: 0
; FloatMode: 240
; IeeeMode: 1
; LDSByteSize: 148 bytes/workgroup (compile time only)
; SGPRBlocks: 1
; VGPRBlocks: 0
; NumSGPRsForWavesPerEU: 14
; NumVGPRsForWavesPerEU: 4
; AccumOffset: 4
; Occupancy: 8
; WaveLimiterHint : 0
; COMPUTE_PGM_RSRC2:SCRATCH_EN: 0
; COMPUTE_PGM_RSRC2:USER_SGPR: 6
; COMPUTE_PGM_RSRC2:TRAP_HANDLER: 0
; COMPUTE_PGM_RSRC2:TGID_X_EN: 1
; COMPUTE_PGM_RSRC2:TGID_Y_EN: 0
; COMPUTE_PGM_RSRC2:TGID_Z_EN: 0
; COMPUTE_PGM_RSRC2:TIDIG_COMP_CNT: 0
; COMPUTE_PGM_RSRC3_GFX90A:ACCUM_OFFSET: 0
; COMPUTE_PGM_RSRC3_GFX90A:TG_SPLIT: 0
	.section	.text._Z24warp_reduce_valid_kernelIiLj37ELj37EENSt9enable_ifIXsr10test_utilsE35device_test_enabled_for_warp_size_vIXT1_EEEvE4typeEPT_S4_i,"axG",@progbits,_Z24warp_reduce_valid_kernelIiLj37ELj37EENSt9enable_ifIXsr10test_utilsE35device_test_enabled_for_warp_size_vIXT1_EEEvE4typeEPT_S4_i,comdat
	.protected	_Z24warp_reduce_valid_kernelIiLj37ELj37EENSt9enable_ifIXsr10test_utilsE35device_test_enabled_for_warp_size_vIXT1_EEEvE4typeEPT_S4_i ; -- Begin function _Z24warp_reduce_valid_kernelIiLj37ELj37EENSt9enable_ifIXsr10test_utilsE35device_test_enabled_for_warp_size_vIXT1_EEEvE4typeEPT_S4_i
	.globl	_Z24warp_reduce_valid_kernelIiLj37ELj37EENSt9enable_ifIXsr10test_utilsE35device_test_enabled_for_warp_size_vIXT1_EEEvE4typeEPT_S4_i
	.p2align	8
	.type	_Z24warp_reduce_valid_kernelIiLj37ELj37EENSt9enable_ifIXsr10test_utilsE35device_test_enabled_for_warp_size_vIXT1_EEEvE4typeEPT_S4_i,@function
_Z24warp_reduce_valid_kernelIiLj37ELj37EENSt9enable_ifIXsr10test_utilsE35device_test_enabled_for_warp_size_vIXT1_EEEvE4typeEPT_S4_i: ; @_Z24warp_reduce_valid_kernelIiLj37ELj37EENSt9enable_ifIXsr10test_utilsE35device_test_enabled_for_warp_size_vIXT1_EEEvE4typeEPT_S4_i
; %bb.0:
	s_load_dword s8, s[4:5], 0x24
	s_load_dwordx4 s[0:3], s[4:5], 0x0
	s_load_dword s7, s[4:5], 0x10
	v_mov_b32_e32 v3, 0
	s_waitcnt lgkmcnt(0)
	s_and_b32 s4, s8, 0xffff
	s_mul_i32 s6, s6, s4
	v_add_u32_e32 v2, s6, v0
	v_lshlrev_b64 v[4:5], 2, v[2:3]
	v_mov_b32_e32 v1, s1
	v_add_co_u32_e32 v4, vcc, s0, v4
	v_addc_co_u32_e32 v5, vcc, v1, v5, vcc
	global_load_dword v1, v[4:5], off
	v_mbcnt_lo_u32_b32 v3, -1, 0
	s_mov_b32 s1, 0x6eb3e46
	v_mul_u32_u24_e32 v4, 0x6ec, v0
	v_mbcnt_hi_u32_b32 v5, -1, v3
	v_lshrrev_b32_e32 v3, 16, v4
	v_mul_hi_u32 v4, v5, s1
	v_mul_u32_u24_e32 v4, 37, v4
	v_sub_u32_e32 v5, v5, v4
	s_movk_i32 s0, 0x94
	v_lshlrev_b32_e32 v4, 2, v5
	v_add_u32_e32 v6, 32, v5
	v_cmp_gt_u32_e32 vcc, 5, v5
	v_mad_u32_u24 v4, v3, s0, v4
	v_cmp_gt_u32_e64 s[0:1], s7, v6
	s_and_b64 s[0:1], vcc, s[0:1]
	s_waitcnt vmcnt(0)
	ds_write_b32 v4, v1
	; wave barrier
	s_and_saveexec_b64 s[4:5], s[0:1]
	s_cbranch_execz .LBB77_2
; %bb.1:
	ds_read2_b32 v[6:7], v4 offset1:32
	s_waitcnt lgkmcnt(0)
	v_add_u32_e32 v1, v7, v6
.LBB77_2:
	s_or_b64 exec, exec, s[4:5]
	; wave barrier
	s_and_saveexec_b64 s[4:5], s[0:1]
	s_cbranch_execz .LBB77_4
; %bb.3:
	ds_write_b32 v4, v1
.LBB77_4:
	s_or_b64 exec, exec, s[4:5]
	v_add_u32_e32 v6, 16, v5
	v_cmp_gt_u32_e32 vcc, 16, v5
	v_cmp_gt_u32_e64 s[0:1], s7, v6
	s_and_b64 s[0:1], vcc, s[0:1]
	; wave barrier
	s_and_saveexec_b64 s[4:5], s[0:1]
	s_cbranch_execz .LBB77_6
; %bb.5:
	ds_read2_b32 v[6:7], v4 offset1:16
	s_waitcnt lgkmcnt(0)
	v_add_u32_e32 v1, v7, v6
.LBB77_6:
	s_or_b64 exec, exec, s[4:5]
	; wave barrier
	s_and_saveexec_b64 s[4:5], s[0:1]
	s_cbranch_execz .LBB77_8
; %bb.7:
	ds_write_b32 v4, v1
.LBB77_8:
	s_or_b64 exec, exec, s[4:5]
	v_add_u32_e32 v6, 8, v5
	v_cmp_gt_u32_e32 vcc, 8, v5
	v_cmp_gt_u32_e64 s[0:1], s7, v6
	s_and_b64 s[0:1], vcc, s[0:1]
	;; [unrolled: 20-line block ×4, first 2 shown]
	; wave barrier
	s_and_saveexec_b64 s[4:5], s[0:1]
	s_cbranch_execz .LBB77_18
; %bb.17:
	ds_read2_b32 v[6:7], v4 offset1:2
	s_waitcnt lgkmcnt(0)
	v_add_u32_e32 v1, v7, v6
.LBB77_18:
	s_or_b64 exec, exec, s[4:5]
	; wave barrier
	s_and_saveexec_b64 s[4:5], s[0:1]
	s_cbranch_execz .LBB77_20
; %bb.19:
	ds_write_b32 v4, v1
.LBB77_20:
	s_or_b64 exec, exec, s[4:5]
	v_add_u32_e32 v6, 1, v5
	v_cmp_eq_u32_e32 vcc, 0, v5
	v_cmp_gt_u32_e64 s[0:1], s7, v6
	s_and_b64 s[0:1], vcc, s[0:1]
	; wave barrier
	s_and_saveexec_b64 s[4:5], s[0:1]
	s_cbranch_execz .LBB77_22
; %bb.21:
	v_mul_u32_u24_e32 v1, 0x94, v3
	ds_read_b32 v5, v4
	ds_read_b32 v1, v1 offset:4
	s_waitcnt lgkmcnt(0)
	v_add_u32_e32 v1, v1, v5
.LBB77_22:
	s_or_b64 exec, exec, s[4:5]
	; wave barrier
	s_and_saveexec_b64 s[4:5], s[0:1]
	s_cbranch_execz .LBB77_24
; %bb.23:
	ds_write_b32 v4, v1
.LBB77_24:
	s_or_b64 exec, exec, s[4:5]
	v_mul_lo_u16_e32 v3, 37, v3
	v_sub_u16_e32 v0, v0, v3
	v_cmp_eq_u16_e32 vcc, 0, v0
	; wave barrier
	s_and_saveexec_b64 s[0:1], vcc
	s_cbranch_execz .LBB77_26
; %bb.25:
	s_mov_b32 s0, 0xbacf914d
	v_mul_hi_u32 v0, v2, s0
	v_sub_u32_e32 v2, v2, v0
	v_lshrrev_b32_e32 v2, 1, v2
	v_add_u32_e32 v0, v2, v0
	v_lshrrev_b32_e32 v0, 3, v0
	v_and_b32_e32 v0, 0x1ffffffc, v0
	global_store_dword v0, v1, s[2:3]
.LBB77_26:
	s_endpgm
	.section	.rodata,"a",@progbits
	.p2align	6, 0x0
	.amdhsa_kernel _Z24warp_reduce_valid_kernelIiLj37ELj37EENSt9enable_ifIXsr10test_utilsE35device_test_enabled_for_warp_size_vIXT1_EEEvE4typeEPT_S4_i
		.amdhsa_group_segment_fixed_size 148
		.amdhsa_private_segment_fixed_size 0
		.amdhsa_kernarg_size 280
		.amdhsa_user_sgpr_count 6
		.amdhsa_user_sgpr_private_segment_buffer 1
		.amdhsa_user_sgpr_dispatch_ptr 0
		.amdhsa_user_sgpr_queue_ptr 0
		.amdhsa_user_sgpr_kernarg_segment_ptr 1
		.amdhsa_user_sgpr_dispatch_id 0
		.amdhsa_user_sgpr_flat_scratch_init 0
		.amdhsa_user_sgpr_kernarg_preload_length 0
		.amdhsa_user_sgpr_kernarg_preload_offset 0
		.amdhsa_user_sgpr_private_segment_size 0
		.amdhsa_uses_dynamic_stack 0
		.amdhsa_system_sgpr_private_segment_wavefront_offset 0
		.amdhsa_system_sgpr_workgroup_id_x 1
		.amdhsa_system_sgpr_workgroup_id_y 0
		.amdhsa_system_sgpr_workgroup_id_z 0
		.amdhsa_system_sgpr_workgroup_info 0
		.amdhsa_system_vgpr_workitem_id 0
		.amdhsa_next_free_vgpr 8
		.amdhsa_next_free_sgpr 9
		.amdhsa_accum_offset 8
		.amdhsa_reserve_vcc 1
		.amdhsa_reserve_flat_scratch 0
		.amdhsa_float_round_mode_32 0
		.amdhsa_float_round_mode_16_64 0
		.amdhsa_float_denorm_mode_32 3
		.amdhsa_float_denorm_mode_16_64 3
		.amdhsa_dx10_clamp 1
		.amdhsa_ieee_mode 1
		.amdhsa_fp16_overflow 0
		.amdhsa_tg_split 0
		.amdhsa_exception_fp_ieee_invalid_op 0
		.amdhsa_exception_fp_denorm_src 0
		.amdhsa_exception_fp_ieee_div_zero 0
		.amdhsa_exception_fp_ieee_overflow 0
		.amdhsa_exception_fp_ieee_underflow 0
		.amdhsa_exception_fp_ieee_inexact 0
		.amdhsa_exception_int_div_zero 0
	.end_amdhsa_kernel
	.section	.text._Z24warp_reduce_valid_kernelIiLj37ELj37EENSt9enable_ifIXsr10test_utilsE35device_test_enabled_for_warp_size_vIXT1_EEEvE4typeEPT_S4_i,"axG",@progbits,_Z24warp_reduce_valid_kernelIiLj37ELj37EENSt9enable_ifIXsr10test_utilsE35device_test_enabled_for_warp_size_vIXT1_EEEvE4typeEPT_S4_i,comdat
.Lfunc_end77:
	.size	_Z24warp_reduce_valid_kernelIiLj37ELj37EENSt9enable_ifIXsr10test_utilsE35device_test_enabled_for_warp_size_vIXT1_EEEvE4typeEPT_S4_i, .Lfunc_end77-_Z24warp_reduce_valid_kernelIiLj37ELj37EENSt9enable_ifIXsr10test_utilsE35device_test_enabled_for_warp_size_vIXT1_EEEvE4typeEPT_S4_i
                                        ; -- End function
	.section	.AMDGPU.csdata,"",@progbits
; Kernel info:
; codeLenInByte = 652
; NumSgprs: 13
; NumVgprs: 8
; NumAgprs: 0
; TotalNumVgprs: 8
; ScratchSize: 0
; MemoryBound: 0
; FloatMode: 240
; IeeeMode: 1
; LDSByteSize: 148 bytes/workgroup (compile time only)
; SGPRBlocks: 1
; VGPRBlocks: 0
; NumSGPRsForWavesPerEU: 13
; NumVGPRsForWavesPerEU: 8
; AccumOffset: 8
; Occupancy: 8
; WaveLimiterHint : 0
; COMPUTE_PGM_RSRC2:SCRATCH_EN: 0
; COMPUTE_PGM_RSRC2:USER_SGPR: 6
; COMPUTE_PGM_RSRC2:TRAP_HANDLER: 0
; COMPUTE_PGM_RSRC2:TGID_X_EN: 1
; COMPUTE_PGM_RSRC2:TGID_Y_EN: 0
; COMPUTE_PGM_RSRC2:TGID_Z_EN: 0
; COMPUTE_PGM_RSRC2:TIDIG_COMP_CNT: 0
; COMPUTE_PGM_RSRC3_GFX90A:ACCUM_OFFSET: 1
; COMPUTE_PGM_RSRC3_GFX90A:TG_SPLIT: 0
	.section	.text._Z24warp_reduce_valid_kernelIiLj30ELj15EENSt9enable_ifIXsr10test_utilsE35device_test_enabled_for_warp_size_vIXT1_EEEvE4typeEPT_S4_i,"axG",@progbits,_Z24warp_reduce_valid_kernelIiLj30ELj15EENSt9enable_ifIXsr10test_utilsE35device_test_enabled_for_warp_size_vIXT1_EEEvE4typeEPT_S4_i,comdat
	.protected	_Z24warp_reduce_valid_kernelIiLj30ELj15EENSt9enable_ifIXsr10test_utilsE35device_test_enabled_for_warp_size_vIXT1_EEEvE4typeEPT_S4_i ; -- Begin function _Z24warp_reduce_valid_kernelIiLj30ELj15EENSt9enable_ifIXsr10test_utilsE35device_test_enabled_for_warp_size_vIXT1_EEEvE4typeEPT_S4_i
	.globl	_Z24warp_reduce_valid_kernelIiLj30ELj15EENSt9enable_ifIXsr10test_utilsE35device_test_enabled_for_warp_size_vIXT1_EEEvE4typeEPT_S4_i
	.p2align	8
	.type	_Z24warp_reduce_valid_kernelIiLj30ELj15EENSt9enable_ifIXsr10test_utilsE35device_test_enabled_for_warp_size_vIXT1_EEEvE4typeEPT_S4_i,@function
_Z24warp_reduce_valid_kernelIiLj30ELj15EENSt9enable_ifIXsr10test_utilsE35device_test_enabled_for_warp_size_vIXT1_EEEvE4typeEPT_S4_i: ; @_Z24warp_reduce_valid_kernelIiLj30ELj15EENSt9enable_ifIXsr10test_utilsE35device_test_enabled_for_warp_size_vIXT1_EEEvE4typeEPT_S4_i
; %bb.0:
	s_load_dword s8, s[4:5], 0x24
	s_load_dwordx4 s[0:3], s[4:5], 0x0
	s_load_dword s7, s[4:5], 0x10
	v_mov_b32_e32 v3, 0
	s_waitcnt lgkmcnt(0)
	s_and_b32 s4, s8, 0xffff
	s_mul_i32 s6, s6, s4
	v_add_u32_e32 v2, s6, v0
	v_lshlrev_b64 v[4:5], 2, v[2:3]
	v_mov_b32_e32 v1, s1
	v_add_co_u32_e32 v4, vcc, s0, v4
	v_addc_co_u32_e32 v5, vcc, v1, v5, vcc
	global_load_dword v1, v[4:5], off
	v_mbcnt_lo_u32_b32 v3, -1, 0
	s_mov_b32 s0, 0x11111112
	v_mul_u32_u24_e32 v4, 0x1112, v0
	v_mbcnt_hi_u32_b32 v5, -1, v3
	v_lshrrev_b32_e32 v3, 16, v4
	v_mul_hi_u32 v4, v5, s0
	v_mul_u32_u24_e32 v4, 15, v4
	v_sub_u32_e32 v5, v5, v4
	v_add_u32_e32 v6, 8, v5
	v_lshlrev_b32_e32 v4, 2, v5
	v_cmp_gt_u32_e32 vcc, 7, v5
	v_cmp_gt_u32_e64 s[0:1], s7, v6
	v_mad_u32_u24 v4, v3, 60, v4
	s_and_b64 s[0:1], vcc, s[0:1]
	s_waitcnt vmcnt(0)
	ds_write_b32 v4, v1
	; wave barrier
	s_and_saveexec_b64 s[4:5], s[0:1]
	s_cbranch_execz .LBB78_2
; %bb.1:
	ds_read2_b32 v[6:7], v4 offset1:8
	s_waitcnt lgkmcnt(0)
	v_add_u32_e32 v1, v7, v6
.LBB78_2:
	s_or_b64 exec, exec, s[4:5]
	; wave barrier
	s_and_saveexec_b64 s[4:5], s[0:1]
	s_cbranch_execz .LBB78_4
; %bb.3:
	ds_write_b32 v4, v1
.LBB78_4:
	s_or_b64 exec, exec, s[4:5]
	v_add_u32_e32 v6, 4, v5
	v_cmp_gt_u32_e32 vcc, 4, v5
	v_cmp_gt_u32_e64 s[0:1], s7, v6
	s_and_b64 s[0:1], vcc, s[0:1]
	; wave barrier
	s_and_saveexec_b64 s[4:5], s[0:1]
	s_cbranch_execz .LBB78_6
; %bb.5:
	ds_read2_b32 v[6:7], v4 offset1:4
	s_waitcnt lgkmcnt(0)
	v_add_u32_e32 v1, v7, v6
.LBB78_6:
	s_or_b64 exec, exec, s[4:5]
	; wave barrier
	s_and_saveexec_b64 s[4:5], s[0:1]
	s_cbranch_execz .LBB78_8
; %bb.7:
	ds_write_b32 v4, v1
.LBB78_8:
	s_or_b64 exec, exec, s[4:5]
	v_add_u32_e32 v6, 2, v5
	v_cmp_gt_u32_e32 vcc, 2, v5
	v_cmp_gt_u32_e64 s[0:1], s7, v6
	s_and_b64 s[0:1], vcc, s[0:1]
	; wave barrier
	s_and_saveexec_b64 s[4:5], s[0:1]
	s_cbranch_execz .LBB78_10
; %bb.9:
	ds_read2_b32 v[6:7], v4 offset1:2
	s_waitcnt lgkmcnt(0)
	v_add_u32_e32 v1, v7, v6
.LBB78_10:
	s_or_b64 exec, exec, s[4:5]
	; wave barrier
	s_and_saveexec_b64 s[4:5], s[0:1]
	s_cbranch_execz .LBB78_12
; %bb.11:
	ds_write_b32 v4, v1
.LBB78_12:
	s_or_b64 exec, exec, s[4:5]
	v_add_u32_e32 v6, 1, v5
	v_cmp_eq_u32_e32 vcc, 0, v5
	v_cmp_gt_u32_e64 s[0:1], s7, v6
	s_and_b64 s[0:1], vcc, s[0:1]
	; wave barrier
	s_and_saveexec_b64 s[4:5], s[0:1]
	s_cbranch_execz .LBB78_14
; %bb.13:
	v_mul_u32_u24_e32 v1, 60, v3
	ds_read_b32 v5, v4
	ds_read_b32 v1, v1 offset:4
	s_waitcnt lgkmcnt(0)
	v_add_u32_e32 v1, v1, v5
.LBB78_14:
	s_or_b64 exec, exec, s[4:5]
	; wave barrier
	s_and_saveexec_b64 s[4:5], s[0:1]
	s_cbranch_execz .LBB78_16
; %bb.15:
	ds_write_b32 v4, v1
.LBB78_16:
	s_or_b64 exec, exec, s[4:5]
	v_mul_lo_u16_e32 v3, 15, v3
	v_sub_u16_e32 v0, v0, v3
	v_cmp_eq_u16_e32 vcc, 0, v0
	; wave barrier
	s_and_saveexec_b64 s[0:1], vcc
	s_cbranch_execz .LBB78_18
; %bb.17:
	s_mov_b32 s0, 0x88888889
	v_mul_hi_u32 v0, v2, s0
	v_lshrrev_b32_e32 v0, 1, v0
	v_and_b32_e32 v0, 0x7ffffffc, v0
	global_store_dword v0, v1, s[2:3]
.LBB78_18:
	s_endpgm
	.section	.rodata,"a",@progbits
	.p2align	6, 0x0
	.amdhsa_kernel _Z24warp_reduce_valid_kernelIiLj30ELj15EENSt9enable_ifIXsr10test_utilsE35device_test_enabled_for_warp_size_vIXT1_EEEvE4typeEPT_S4_i
		.amdhsa_group_segment_fixed_size 120
		.amdhsa_private_segment_fixed_size 0
		.amdhsa_kernarg_size 280
		.amdhsa_user_sgpr_count 6
		.amdhsa_user_sgpr_private_segment_buffer 1
		.amdhsa_user_sgpr_dispatch_ptr 0
		.amdhsa_user_sgpr_queue_ptr 0
		.amdhsa_user_sgpr_kernarg_segment_ptr 1
		.amdhsa_user_sgpr_dispatch_id 0
		.amdhsa_user_sgpr_flat_scratch_init 0
		.amdhsa_user_sgpr_kernarg_preload_length 0
		.amdhsa_user_sgpr_kernarg_preload_offset 0
		.amdhsa_user_sgpr_private_segment_size 0
		.amdhsa_uses_dynamic_stack 0
		.amdhsa_system_sgpr_private_segment_wavefront_offset 0
		.amdhsa_system_sgpr_workgroup_id_x 1
		.amdhsa_system_sgpr_workgroup_id_y 0
		.amdhsa_system_sgpr_workgroup_id_z 0
		.amdhsa_system_sgpr_workgroup_info 0
		.amdhsa_system_vgpr_workitem_id 0
		.amdhsa_next_free_vgpr 8
		.amdhsa_next_free_sgpr 9
		.amdhsa_accum_offset 8
		.amdhsa_reserve_vcc 1
		.amdhsa_reserve_flat_scratch 0
		.amdhsa_float_round_mode_32 0
		.amdhsa_float_round_mode_16_64 0
		.amdhsa_float_denorm_mode_32 3
		.amdhsa_float_denorm_mode_16_64 3
		.amdhsa_dx10_clamp 1
		.amdhsa_ieee_mode 1
		.amdhsa_fp16_overflow 0
		.amdhsa_tg_split 0
		.amdhsa_exception_fp_ieee_invalid_op 0
		.amdhsa_exception_fp_denorm_src 0
		.amdhsa_exception_fp_ieee_div_zero 0
		.amdhsa_exception_fp_ieee_overflow 0
		.amdhsa_exception_fp_ieee_underflow 0
		.amdhsa_exception_fp_ieee_inexact 0
		.amdhsa_exception_int_div_zero 0
	.end_amdhsa_kernel
	.section	.text._Z24warp_reduce_valid_kernelIiLj30ELj15EENSt9enable_ifIXsr10test_utilsE35device_test_enabled_for_warp_size_vIXT1_EEEvE4typeEPT_S4_i,"axG",@progbits,_Z24warp_reduce_valid_kernelIiLj30ELj15EENSt9enable_ifIXsr10test_utilsE35device_test_enabled_for_warp_size_vIXT1_EEEvE4typeEPT_S4_i,comdat
.Lfunc_end78:
	.size	_Z24warp_reduce_valid_kernelIiLj30ELj15EENSt9enable_ifIXsr10test_utilsE35device_test_enabled_for_warp_size_vIXT1_EEEvE4typeEPT_S4_i, .Lfunc_end78-_Z24warp_reduce_valid_kernelIiLj30ELj15EENSt9enable_ifIXsr10test_utilsE35device_test_enabled_for_warp_size_vIXT1_EEEvE4typeEPT_S4_i
                                        ; -- End function
	.section	.AMDGPU.csdata,"",@progbits
; Kernel info:
; codeLenInByte = 496
; NumSgprs: 13
; NumVgprs: 8
; NumAgprs: 0
; TotalNumVgprs: 8
; ScratchSize: 0
; MemoryBound: 0
; FloatMode: 240
; IeeeMode: 1
; LDSByteSize: 120 bytes/workgroup (compile time only)
; SGPRBlocks: 1
; VGPRBlocks: 0
; NumSGPRsForWavesPerEU: 13
; NumVGPRsForWavesPerEU: 8
; AccumOffset: 8
; Occupancy: 8
; WaveLimiterHint : 0
; COMPUTE_PGM_RSRC2:SCRATCH_EN: 0
; COMPUTE_PGM_RSRC2:USER_SGPR: 6
; COMPUTE_PGM_RSRC2:TRAP_HANDLER: 0
; COMPUTE_PGM_RSRC2:TGID_X_EN: 1
; COMPUTE_PGM_RSRC2:TGID_Y_EN: 0
; COMPUTE_PGM_RSRC2:TGID_Z_EN: 0
; COMPUTE_PGM_RSRC2:TIDIG_COMP_CNT: 0
; COMPUTE_PGM_RSRC3_GFX90A:ACCUM_OFFSET: 1
; COMPUTE_PGM_RSRC3_GFX90A:TG_SPLIT: 0
	.section	.text._Z24warp_reduce_valid_kernelIiLj60ELj15EENSt9enable_ifIXsr10test_utilsE35device_test_enabled_for_warp_size_vIXT1_EEEvE4typeEPT_S4_i,"axG",@progbits,_Z24warp_reduce_valid_kernelIiLj60ELj15EENSt9enable_ifIXsr10test_utilsE35device_test_enabled_for_warp_size_vIXT1_EEEvE4typeEPT_S4_i,comdat
	.protected	_Z24warp_reduce_valid_kernelIiLj60ELj15EENSt9enable_ifIXsr10test_utilsE35device_test_enabled_for_warp_size_vIXT1_EEEvE4typeEPT_S4_i ; -- Begin function _Z24warp_reduce_valid_kernelIiLj60ELj15EENSt9enable_ifIXsr10test_utilsE35device_test_enabled_for_warp_size_vIXT1_EEEvE4typeEPT_S4_i
	.globl	_Z24warp_reduce_valid_kernelIiLj60ELj15EENSt9enable_ifIXsr10test_utilsE35device_test_enabled_for_warp_size_vIXT1_EEEvE4typeEPT_S4_i
	.p2align	8
	.type	_Z24warp_reduce_valid_kernelIiLj60ELj15EENSt9enable_ifIXsr10test_utilsE35device_test_enabled_for_warp_size_vIXT1_EEEvE4typeEPT_S4_i,@function
_Z24warp_reduce_valid_kernelIiLj60ELj15EENSt9enable_ifIXsr10test_utilsE35device_test_enabled_for_warp_size_vIXT1_EEEvE4typeEPT_S4_i: ; @_Z24warp_reduce_valid_kernelIiLj60ELj15EENSt9enable_ifIXsr10test_utilsE35device_test_enabled_for_warp_size_vIXT1_EEEvE4typeEPT_S4_i
; %bb.0:
	s_load_dword s8, s[4:5], 0x24
	s_load_dwordx4 s[0:3], s[4:5], 0x0
	s_load_dword s7, s[4:5], 0x10
	v_mov_b32_e32 v3, 0
	s_waitcnt lgkmcnt(0)
	s_and_b32 s4, s8, 0xffff
	s_mul_i32 s6, s6, s4
	v_add_u32_e32 v2, s6, v0
	v_lshlrev_b64 v[4:5], 2, v[2:3]
	v_mov_b32_e32 v1, s1
	v_add_co_u32_e32 v4, vcc, s0, v4
	v_addc_co_u32_e32 v5, vcc, v1, v5, vcc
	global_load_dword v1, v[4:5], off
	v_mbcnt_lo_u32_b32 v3, -1, 0
	s_mov_b32 s0, 0x11111112
	v_mul_u32_u24_e32 v4, 0x1112, v0
	v_mbcnt_hi_u32_b32 v5, -1, v3
	v_lshrrev_b32_e32 v3, 16, v4
	v_mul_hi_u32 v4, v5, s0
	v_mul_u32_u24_e32 v4, 15, v4
	v_sub_u32_e32 v5, v5, v4
	v_add_u32_e32 v6, 8, v5
	v_lshlrev_b32_e32 v4, 2, v5
	v_cmp_gt_u32_e32 vcc, 7, v5
	v_cmp_gt_u32_e64 s[0:1], s7, v6
	v_mad_u32_u24 v4, v3, 60, v4
	s_and_b64 s[0:1], vcc, s[0:1]
	s_waitcnt vmcnt(0)
	ds_write_b32 v4, v1
	; wave barrier
	s_and_saveexec_b64 s[4:5], s[0:1]
	s_cbranch_execz .LBB79_2
; %bb.1:
	ds_read2_b32 v[6:7], v4 offset1:8
	s_waitcnt lgkmcnt(0)
	v_add_u32_e32 v1, v7, v6
.LBB79_2:
	s_or_b64 exec, exec, s[4:5]
	; wave barrier
	s_and_saveexec_b64 s[4:5], s[0:1]
	s_cbranch_execz .LBB79_4
; %bb.3:
	ds_write_b32 v4, v1
.LBB79_4:
	s_or_b64 exec, exec, s[4:5]
	v_add_u32_e32 v6, 4, v5
	v_cmp_gt_u32_e32 vcc, 4, v5
	v_cmp_gt_u32_e64 s[0:1], s7, v6
	s_and_b64 s[0:1], vcc, s[0:1]
	; wave barrier
	s_and_saveexec_b64 s[4:5], s[0:1]
	s_cbranch_execz .LBB79_6
; %bb.5:
	ds_read2_b32 v[6:7], v4 offset1:4
	s_waitcnt lgkmcnt(0)
	v_add_u32_e32 v1, v7, v6
.LBB79_6:
	s_or_b64 exec, exec, s[4:5]
	; wave barrier
	s_and_saveexec_b64 s[4:5], s[0:1]
	s_cbranch_execz .LBB79_8
; %bb.7:
	ds_write_b32 v4, v1
.LBB79_8:
	s_or_b64 exec, exec, s[4:5]
	v_add_u32_e32 v6, 2, v5
	v_cmp_gt_u32_e32 vcc, 2, v5
	v_cmp_gt_u32_e64 s[0:1], s7, v6
	s_and_b64 s[0:1], vcc, s[0:1]
	; wave barrier
	s_and_saveexec_b64 s[4:5], s[0:1]
	s_cbranch_execz .LBB79_10
; %bb.9:
	ds_read2_b32 v[6:7], v4 offset1:2
	s_waitcnt lgkmcnt(0)
	v_add_u32_e32 v1, v7, v6
.LBB79_10:
	s_or_b64 exec, exec, s[4:5]
	; wave barrier
	s_and_saveexec_b64 s[4:5], s[0:1]
	s_cbranch_execz .LBB79_12
; %bb.11:
	ds_write_b32 v4, v1
.LBB79_12:
	s_or_b64 exec, exec, s[4:5]
	v_add_u32_e32 v6, 1, v5
	v_cmp_eq_u32_e32 vcc, 0, v5
	v_cmp_gt_u32_e64 s[0:1], s7, v6
	s_and_b64 s[0:1], vcc, s[0:1]
	; wave barrier
	s_and_saveexec_b64 s[4:5], s[0:1]
	s_cbranch_execz .LBB79_14
; %bb.13:
	v_mul_u32_u24_e32 v1, 60, v3
	ds_read_b32 v5, v4
	ds_read_b32 v1, v1 offset:4
	s_waitcnt lgkmcnt(0)
	v_add_u32_e32 v1, v1, v5
.LBB79_14:
	s_or_b64 exec, exec, s[4:5]
	; wave barrier
	s_and_saveexec_b64 s[4:5], s[0:1]
	s_cbranch_execz .LBB79_16
; %bb.15:
	ds_write_b32 v4, v1
.LBB79_16:
	s_or_b64 exec, exec, s[4:5]
	v_mul_lo_u16_e32 v3, 15, v3
	v_sub_u16_e32 v0, v0, v3
	v_cmp_eq_u16_e32 vcc, 0, v0
	; wave barrier
	s_and_saveexec_b64 s[0:1], vcc
	s_cbranch_execz .LBB79_18
; %bb.17:
	s_mov_b32 s0, 0x88888889
	v_mul_hi_u32 v0, v2, s0
	v_lshrrev_b32_e32 v0, 1, v0
	v_and_b32_e32 v0, 0x7ffffffc, v0
	global_store_dword v0, v1, s[2:3]
.LBB79_18:
	s_endpgm
	.section	.rodata,"a",@progbits
	.p2align	6, 0x0
	.amdhsa_kernel _Z24warp_reduce_valid_kernelIiLj60ELj15EENSt9enable_ifIXsr10test_utilsE35device_test_enabled_for_warp_size_vIXT1_EEEvE4typeEPT_S4_i
		.amdhsa_group_segment_fixed_size 240
		.amdhsa_private_segment_fixed_size 0
		.amdhsa_kernarg_size 280
		.amdhsa_user_sgpr_count 6
		.amdhsa_user_sgpr_private_segment_buffer 1
		.amdhsa_user_sgpr_dispatch_ptr 0
		.amdhsa_user_sgpr_queue_ptr 0
		.amdhsa_user_sgpr_kernarg_segment_ptr 1
		.amdhsa_user_sgpr_dispatch_id 0
		.amdhsa_user_sgpr_flat_scratch_init 0
		.amdhsa_user_sgpr_kernarg_preload_length 0
		.amdhsa_user_sgpr_kernarg_preload_offset 0
		.amdhsa_user_sgpr_private_segment_size 0
		.amdhsa_uses_dynamic_stack 0
		.amdhsa_system_sgpr_private_segment_wavefront_offset 0
		.amdhsa_system_sgpr_workgroup_id_x 1
		.amdhsa_system_sgpr_workgroup_id_y 0
		.amdhsa_system_sgpr_workgroup_id_z 0
		.amdhsa_system_sgpr_workgroup_info 0
		.amdhsa_system_vgpr_workitem_id 0
		.amdhsa_next_free_vgpr 8
		.amdhsa_next_free_sgpr 9
		.amdhsa_accum_offset 8
		.amdhsa_reserve_vcc 1
		.amdhsa_reserve_flat_scratch 0
		.amdhsa_float_round_mode_32 0
		.amdhsa_float_round_mode_16_64 0
		.amdhsa_float_denorm_mode_32 3
		.amdhsa_float_denorm_mode_16_64 3
		.amdhsa_dx10_clamp 1
		.amdhsa_ieee_mode 1
		.amdhsa_fp16_overflow 0
		.amdhsa_tg_split 0
		.amdhsa_exception_fp_ieee_invalid_op 0
		.amdhsa_exception_fp_denorm_src 0
		.amdhsa_exception_fp_ieee_div_zero 0
		.amdhsa_exception_fp_ieee_overflow 0
		.amdhsa_exception_fp_ieee_underflow 0
		.amdhsa_exception_fp_ieee_inexact 0
		.amdhsa_exception_int_div_zero 0
	.end_amdhsa_kernel
	.section	.text._Z24warp_reduce_valid_kernelIiLj60ELj15EENSt9enable_ifIXsr10test_utilsE35device_test_enabled_for_warp_size_vIXT1_EEEvE4typeEPT_S4_i,"axG",@progbits,_Z24warp_reduce_valid_kernelIiLj60ELj15EENSt9enable_ifIXsr10test_utilsE35device_test_enabled_for_warp_size_vIXT1_EEEvE4typeEPT_S4_i,comdat
.Lfunc_end79:
	.size	_Z24warp_reduce_valid_kernelIiLj60ELj15EENSt9enable_ifIXsr10test_utilsE35device_test_enabled_for_warp_size_vIXT1_EEEvE4typeEPT_S4_i, .Lfunc_end79-_Z24warp_reduce_valid_kernelIiLj60ELj15EENSt9enable_ifIXsr10test_utilsE35device_test_enabled_for_warp_size_vIXT1_EEEvE4typeEPT_S4_i
                                        ; -- End function
	.section	.AMDGPU.csdata,"",@progbits
; Kernel info:
; codeLenInByte = 496
; NumSgprs: 13
; NumVgprs: 8
; NumAgprs: 0
; TotalNumVgprs: 8
; ScratchSize: 0
; MemoryBound: 0
; FloatMode: 240
; IeeeMode: 1
; LDSByteSize: 240 bytes/workgroup (compile time only)
; SGPRBlocks: 1
; VGPRBlocks: 0
; NumSGPRsForWavesPerEU: 13
; NumVGPRsForWavesPerEU: 8
; AccumOffset: 8
; Occupancy: 8
; WaveLimiterHint : 0
; COMPUTE_PGM_RSRC2:SCRATCH_EN: 0
; COMPUTE_PGM_RSRC2:USER_SGPR: 6
; COMPUTE_PGM_RSRC2:TRAP_HANDLER: 0
; COMPUTE_PGM_RSRC2:TGID_X_EN: 1
; COMPUTE_PGM_RSRC2:TGID_Y_EN: 0
; COMPUTE_PGM_RSRC2:TGID_Z_EN: 0
; COMPUTE_PGM_RSRC2:TIDIG_COMP_CNT: 0
; COMPUTE_PGM_RSRC3_GFX90A:ACCUM_OFFSET: 1
; COMPUTE_PGM_RSRC3_GFX90A:TG_SPLIT: 0
	.section	.text._Z24warp_reduce_valid_kernelIiLj28ELj7EENSt9enable_ifIXsr10test_utilsE35device_test_enabled_for_warp_size_vIXT1_EEEvE4typeEPT_S4_i,"axG",@progbits,_Z24warp_reduce_valid_kernelIiLj28ELj7EENSt9enable_ifIXsr10test_utilsE35device_test_enabled_for_warp_size_vIXT1_EEEvE4typeEPT_S4_i,comdat
	.protected	_Z24warp_reduce_valid_kernelIiLj28ELj7EENSt9enable_ifIXsr10test_utilsE35device_test_enabled_for_warp_size_vIXT1_EEEvE4typeEPT_S4_i ; -- Begin function _Z24warp_reduce_valid_kernelIiLj28ELj7EENSt9enable_ifIXsr10test_utilsE35device_test_enabled_for_warp_size_vIXT1_EEEvE4typeEPT_S4_i
	.globl	_Z24warp_reduce_valid_kernelIiLj28ELj7EENSt9enable_ifIXsr10test_utilsE35device_test_enabled_for_warp_size_vIXT1_EEEvE4typeEPT_S4_i
	.p2align	8
	.type	_Z24warp_reduce_valid_kernelIiLj28ELj7EENSt9enable_ifIXsr10test_utilsE35device_test_enabled_for_warp_size_vIXT1_EEEvE4typeEPT_S4_i,@function
_Z24warp_reduce_valid_kernelIiLj28ELj7EENSt9enable_ifIXsr10test_utilsE35device_test_enabled_for_warp_size_vIXT1_EEEvE4typeEPT_S4_i: ; @_Z24warp_reduce_valid_kernelIiLj28ELj7EENSt9enable_ifIXsr10test_utilsE35device_test_enabled_for_warp_size_vIXT1_EEEvE4typeEPT_S4_i
; %bb.0:
	s_load_dword s8, s[4:5], 0x24
	s_load_dwordx4 s[0:3], s[4:5], 0x0
	s_load_dword s7, s[4:5], 0x10
	v_mov_b32_e32 v3, 0
	s_waitcnt lgkmcnt(0)
	s_and_b32 s4, s8, 0xffff
	s_mul_i32 s6, s6, s4
	v_add_u32_e32 v2, s6, v0
	v_lshlrev_b64 v[4:5], 2, v[2:3]
	v_mov_b32_e32 v1, s1
	v_add_co_u32_e32 v4, vcc, s0, v4
	v_addc_co_u32_e32 v5, vcc, v1, v5, vcc
	global_load_dword v1, v[4:5], off
	v_mbcnt_lo_u32_b32 v3, -1, 0
	s_mov_b32 s0, 0x24924925
	v_mul_u32_u24_e32 v4, 0x2493, v0
	v_mbcnt_hi_u32_b32 v5, -1, v3
	v_lshrrev_b32_e32 v3, 16, v4
	v_mul_hi_u32 v4, v5, s0
	v_mul_u32_u24_e32 v4, 7, v4
	v_sub_u32_e32 v5, v5, v4
	v_add_u32_e32 v6, 4, v5
	v_lshlrev_b32_e32 v4, 2, v5
	v_cmp_gt_u32_e32 vcc, 3, v5
	v_cmp_gt_u32_e64 s[0:1], s7, v6
	v_mad_u32_u24 v4, v3, 28, v4
	s_and_b64 s[0:1], vcc, s[0:1]
	s_waitcnt vmcnt(0)
	ds_write_b32 v4, v1
	; wave barrier
	s_and_saveexec_b64 s[4:5], s[0:1]
	s_cbranch_execz .LBB80_2
; %bb.1:
	ds_read2_b32 v[6:7], v4 offset1:4
	s_waitcnt lgkmcnt(0)
	v_add_u32_e32 v1, v7, v6
.LBB80_2:
	s_or_b64 exec, exec, s[4:5]
	; wave barrier
	s_and_saveexec_b64 s[4:5], s[0:1]
	s_cbranch_execz .LBB80_4
; %bb.3:
	ds_write_b32 v4, v1
.LBB80_4:
	s_or_b64 exec, exec, s[4:5]
	v_add_u32_e32 v6, 2, v5
	v_cmp_gt_u32_e32 vcc, 2, v5
	v_cmp_gt_u32_e64 s[0:1], s7, v6
	s_and_b64 s[0:1], vcc, s[0:1]
	; wave barrier
	s_and_saveexec_b64 s[4:5], s[0:1]
	s_cbranch_execz .LBB80_6
; %bb.5:
	ds_read2_b32 v[6:7], v4 offset1:2
	s_waitcnt lgkmcnt(0)
	v_add_u32_e32 v1, v7, v6
.LBB80_6:
	s_or_b64 exec, exec, s[4:5]
	; wave barrier
	s_and_saveexec_b64 s[4:5], s[0:1]
	s_cbranch_execz .LBB80_8
; %bb.7:
	ds_write_b32 v4, v1
.LBB80_8:
	s_or_b64 exec, exec, s[4:5]
	v_add_u32_e32 v6, 1, v5
	v_cmp_eq_u32_e32 vcc, 0, v5
	v_cmp_gt_u32_e64 s[0:1], s7, v6
	s_and_b64 s[0:1], vcc, s[0:1]
	; wave barrier
	s_and_saveexec_b64 s[4:5], s[0:1]
	s_cbranch_execz .LBB80_10
; %bb.9:
	v_mul_u32_u24_e32 v1, 28, v3
	ds_read_b32 v5, v4
	ds_read_b32 v1, v1 offset:4
	s_waitcnt lgkmcnt(0)
	v_add_u32_e32 v1, v1, v5
.LBB80_10:
	s_or_b64 exec, exec, s[4:5]
	; wave barrier
	s_and_saveexec_b64 s[4:5], s[0:1]
	s_cbranch_execz .LBB80_12
; %bb.11:
	ds_write_b32 v4, v1
.LBB80_12:
	s_or_b64 exec, exec, s[4:5]
	v_mul_lo_u16_e32 v3, 7, v3
	v_sub_u16_e32 v0, v0, v3
	v_cmp_eq_u16_e32 vcc, 0, v0
	; wave barrier
	s_and_saveexec_b64 s[0:1], vcc
	s_cbranch_execz .LBB80_14
; %bb.13:
	s_mov_b32 s0, 0x24924925
	v_mul_hi_u32 v0, v2, s0
	v_sub_u32_e32 v2, v2, v0
	v_lshrrev_b32_e32 v2, 1, v2
	v_add_u32_e32 v0, v2, v0
	v_and_b32_e32 v0, -4, v0
	global_store_dword v0, v1, s[2:3]
.LBB80_14:
	s_endpgm
	.section	.rodata,"a",@progbits
	.p2align	6, 0x0
	.amdhsa_kernel _Z24warp_reduce_valid_kernelIiLj28ELj7EENSt9enable_ifIXsr10test_utilsE35device_test_enabled_for_warp_size_vIXT1_EEEvE4typeEPT_S4_i
		.amdhsa_group_segment_fixed_size 112
		.amdhsa_private_segment_fixed_size 0
		.amdhsa_kernarg_size 280
		.amdhsa_user_sgpr_count 6
		.amdhsa_user_sgpr_private_segment_buffer 1
		.amdhsa_user_sgpr_dispatch_ptr 0
		.amdhsa_user_sgpr_queue_ptr 0
		.amdhsa_user_sgpr_kernarg_segment_ptr 1
		.amdhsa_user_sgpr_dispatch_id 0
		.amdhsa_user_sgpr_flat_scratch_init 0
		.amdhsa_user_sgpr_kernarg_preload_length 0
		.amdhsa_user_sgpr_kernarg_preload_offset 0
		.amdhsa_user_sgpr_private_segment_size 0
		.amdhsa_uses_dynamic_stack 0
		.amdhsa_system_sgpr_private_segment_wavefront_offset 0
		.amdhsa_system_sgpr_workgroup_id_x 1
		.amdhsa_system_sgpr_workgroup_id_y 0
		.amdhsa_system_sgpr_workgroup_id_z 0
		.amdhsa_system_sgpr_workgroup_info 0
		.amdhsa_system_vgpr_workitem_id 0
		.amdhsa_next_free_vgpr 8
		.amdhsa_next_free_sgpr 9
		.amdhsa_accum_offset 8
		.amdhsa_reserve_vcc 1
		.amdhsa_reserve_flat_scratch 0
		.amdhsa_float_round_mode_32 0
		.amdhsa_float_round_mode_16_64 0
		.amdhsa_float_denorm_mode_32 3
		.amdhsa_float_denorm_mode_16_64 3
		.amdhsa_dx10_clamp 1
		.amdhsa_ieee_mode 1
		.amdhsa_fp16_overflow 0
		.amdhsa_tg_split 0
		.amdhsa_exception_fp_ieee_invalid_op 0
		.amdhsa_exception_fp_denorm_src 0
		.amdhsa_exception_fp_ieee_div_zero 0
		.amdhsa_exception_fp_ieee_overflow 0
		.amdhsa_exception_fp_ieee_underflow 0
		.amdhsa_exception_fp_ieee_inexact 0
		.amdhsa_exception_int_div_zero 0
	.end_amdhsa_kernel
	.section	.text._Z24warp_reduce_valid_kernelIiLj28ELj7EENSt9enable_ifIXsr10test_utilsE35device_test_enabled_for_warp_size_vIXT1_EEEvE4typeEPT_S4_i,"axG",@progbits,_Z24warp_reduce_valid_kernelIiLj28ELj7EENSt9enable_ifIXsr10test_utilsE35device_test_enabled_for_warp_size_vIXT1_EEEvE4typeEPT_S4_i,comdat
.Lfunc_end80:
	.size	_Z24warp_reduce_valid_kernelIiLj28ELj7EENSt9enable_ifIXsr10test_utilsE35device_test_enabled_for_warp_size_vIXT1_EEEvE4typeEPT_S4_i, .Lfunc_end80-_Z24warp_reduce_valid_kernelIiLj28ELj7EENSt9enable_ifIXsr10test_utilsE35device_test_enabled_for_warp_size_vIXT1_EEEvE4typeEPT_S4_i
                                        ; -- End function
	.section	.AMDGPU.csdata,"",@progbits
; Kernel info:
; codeLenInByte = 432
; NumSgprs: 13
; NumVgprs: 8
; NumAgprs: 0
; TotalNumVgprs: 8
; ScratchSize: 0
; MemoryBound: 0
; FloatMode: 240
; IeeeMode: 1
; LDSByteSize: 112 bytes/workgroup (compile time only)
; SGPRBlocks: 1
; VGPRBlocks: 0
; NumSGPRsForWavesPerEU: 13
; NumVGPRsForWavesPerEU: 8
; AccumOffset: 8
; Occupancy: 8
; WaveLimiterHint : 0
; COMPUTE_PGM_RSRC2:SCRATCH_EN: 0
; COMPUTE_PGM_RSRC2:USER_SGPR: 6
; COMPUTE_PGM_RSRC2:TRAP_HANDLER: 0
; COMPUTE_PGM_RSRC2:TGID_X_EN: 1
; COMPUTE_PGM_RSRC2:TGID_Y_EN: 0
; COMPUTE_PGM_RSRC2:TGID_Z_EN: 0
; COMPUTE_PGM_RSRC2:TIDIG_COMP_CNT: 0
; COMPUTE_PGM_RSRC3_GFX90A:ACCUM_OFFSET: 1
; COMPUTE_PGM_RSRC3_GFX90A:TG_SPLIT: 0
	.section	.text._Z24warp_reduce_valid_kernelIiLj63ELj7EENSt9enable_ifIXsr10test_utilsE35device_test_enabled_for_warp_size_vIXT1_EEEvE4typeEPT_S4_i,"axG",@progbits,_Z24warp_reduce_valid_kernelIiLj63ELj7EENSt9enable_ifIXsr10test_utilsE35device_test_enabled_for_warp_size_vIXT1_EEEvE4typeEPT_S4_i,comdat
	.protected	_Z24warp_reduce_valid_kernelIiLj63ELj7EENSt9enable_ifIXsr10test_utilsE35device_test_enabled_for_warp_size_vIXT1_EEEvE4typeEPT_S4_i ; -- Begin function _Z24warp_reduce_valid_kernelIiLj63ELj7EENSt9enable_ifIXsr10test_utilsE35device_test_enabled_for_warp_size_vIXT1_EEEvE4typeEPT_S4_i
	.globl	_Z24warp_reduce_valid_kernelIiLj63ELj7EENSt9enable_ifIXsr10test_utilsE35device_test_enabled_for_warp_size_vIXT1_EEEvE4typeEPT_S4_i
	.p2align	8
	.type	_Z24warp_reduce_valid_kernelIiLj63ELj7EENSt9enable_ifIXsr10test_utilsE35device_test_enabled_for_warp_size_vIXT1_EEEvE4typeEPT_S4_i,@function
_Z24warp_reduce_valid_kernelIiLj63ELj7EENSt9enable_ifIXsr10test_utilsE35device_test_enabled_for_warp_size_vIXT1_EEEvE4typeEPT_S4_i: ; @_Z24warp_reduce_valid_kernelIiLj63ELj7EENSt9enable_ifIXsr10test_utilsE35device_test_enabled_for_warp_size_vIXT1_EEEvE4typeEPT_S4_i
; %bb.0:
	s_load_dword s8, s[4:5], 0x24
	s_load_dwordx4 s[0:3], s[4:5], 0x0
	s_load_dword s7, s[4:5], 0x10
	v_mov_b32_e32 v3, 0
	s_waitcnt lgkmcnt(0)
	s_and_b32 s4, s8, 0xffff
	s_mul_i32 s6, s6, s4
	v_add_u32_e32 v2, s6, v0
	v_lshlrev_b64 v[4:5], 2, v[2:3]
	v_mov_b32_e32 v1, s1
	v_add_co_u32_e32 v4, vcc, s0, v4
	v_addc_co_u32_e32 v5, vcc, v1, v5, vcc
	global_load_dword v1, v[4:5], off
	v_mbcnt_lo_u32_b32 v3, -1, 0
	s_mov_b32 s0, 0x24924925
	v_mul_u32_u24_e32 v4, 0x2493, v0
	v_mbcnt_hi_u32_b32 v5, -1, v3
	v_lshrrev_b32_e32 v3, 16, v4
	v_mul_hi_u32 v4, v5, s0
	v_mul_u32_u24_e32 v4, 7, v4
	v_sub_u32_e32 v5, v5, v4
	v_add_u32_e32 v6, 4, v5
	v_lshlrev_b32_e32 v4, 2, v5
	v_cmp_gt_u32_e32 vcc, 3, v5
	v_cmp_gt_u32_e64 s[0:1], s7, v6
	v_mad_u32_u24 v4, v3, 28, v4
	s_and_b64 s[0:1], vcc, s[0:1]
	s_waitcnt vmcnt(0)
	ds_write_b32 v4, v1
	; wave barrier
	s_and_saveexec_b64 s[4:5], s[0:1]
	s_cbranch_execz .LBB81_2
; %bb.1:
	ds_read2_b32 v[6:7], v4 offset1:4
	s_waitcnt lgkmcnt(0)
	v_add_u32_e32 v1, v7, v6
.LBB81_2:
	s_or_b64 exec, exec, s[4:5]
	; wave barrier
	s_and_saveexec_b64 s[4:5], s[0:1]
	s_cbranch_execz .LBB81_4
; %bb.3:
	ds_write_b32 v4, v1
.LBB81_4:
	s_or_b64 exec, exec, s[4:5]
	v_add_u32_e32 v6, 2, v5
	v_cmp_gt_u32_e32 vcc, 2, v5
	v_cmp_gt_u32_e64 s[0:1], s7, v6
	s_and_b64 s[0:1], vcc, s[0:1]
	; wave barrier
	s_and_saveexec_b64 s[4:5], s[0:1]
	s_cbranch_execz .LBB81_6
; %bb.5:
	ds_read2_b32 v[6:7], v4 offset1:2
	s_waitcnt lgkmcnt(0)
	v_add_u32_e32 v1, v7, v6
.LBB81_6:
	s_or_b64 exec, exec, s[4:5]
	; wave barrier
	s_and_saveexec_b64 s[4:5], s[0:1]
	s_cbranch_execz .LBB81_8
; %bb.7:
	ds_write_b32 v4, v1
.LBB81_8:
	s_or_b64 exec, exec, s[4:5]
	v_add_u32_e32 v6, 1, v5
	v_cmp_eq_u32_e32 vcc, 0, v5
	v_cmp_gt_u32_e64 s[0:1], s7, v6
	s_and_b64 s[0:1], vcc, s[0:1]
	; wave barrier
	s_and_saveexec_b64 s[4:5], s[0:1]
	s_cbranch_execz .LBB81_10
; %bb.9:
	v_mul_u32_u24_e32 v1, 28, v3
	ds_read_b32 v5, v4
	ds_read_b32 v1, v1 offset:4
	s_waitcnt lgkmcnt(0)
	v_add_u32_e32 v1, v1, v5
.LBB81_10:
	s_or_b64 exec, exec, s[4:5]
	; wave barrier
	s_and_saveexec_b64 s[4:5], s[0:1]
	s_cbranch_execz .LBB81_12
; %bb.11:
	ds_write_b32 v4, v1
.LBB81_12:
	s_or_b64 exec, exec, s[4:5]
	v_mul_lo_u16_e32 v3, 7, v3
	v_sub_u16_e32 v0, v0, v3
	v_cmp_eq_u16_e32 vcc, 0, v0
	; wave barrier
	s_and_saveexec_b64 s[0:1], vcc
	s_cbranch_execz .LBB81_14
; %bb.13:
	s_mov_b32 s0, 0x24924925
	v_mul_hi_u32 v0, v2, s0
	v_sub_u32_e32 v2, v2, v0
	v_lshrrev_b32_e32 v2, 1, v2
	v_add_u32_e32 v0, v2, v0
	v_and_b32_e32 v0, -4, v0
	global_store_dword v0, v1, s[2:3]
.LBB81_14:
	s_endpgm
	.section	.rodata,"a",@progbits
	.p2align	6, 0x0
	.amdhsa_kernel _Z24warp_reduce_valid_kernelIiLj63ELj7EENSt9enable_ifIXsr10test_utilsE35device_test_enabled_for_warp_size_vIXT1_EEEvE4typeEPT_S4_i
		.amdhsa_group_segment_fixed_size 252
		.amdhsa_private_segment_fixed_size 0
		.amdhsa_kernarg_size 280
		.amdhsa_user_sgpr_count 6
		.amdhsa_user_sgpr_private_segment_buffer 1
		.amdhsa_user_sgpr_dispatch_ptr 0
		.amdhsa_user_sgpr_queue_ptr 0
		.amdhsa_user_sgpr_kernarg_segment_ptr 1
		.amdhsa_user_sgpr_dispatch_id 0
		.amdhsa_user_sgpr_flat_scratch_init 0
		.amdhsa_user_sgpr_kernarg_preload_length 0
		.amdhsa_user_sgpr_kernarg_preload_offset 0
		.amdhsa_user_sgpr_private_segment_size 0
		.amdhsa_uses_dynamic_stack 0
		.amdhsa_system_sgpr_private_segment_wavefront_offset 0
		.amdhsa_system_sgpr_workgroup_id_x 1
		.amdhsa_system_sgpr_workgroup_id_y 0
		.amdhsa_system_sgpr_workgroup_id_z 0
		.amdhsa_system_sgpr_workgroup_info 0
		.amdhsa_system_vgpr_workitem_id 0
		.amdhsa_next_free_vgpr 8
		.amdhsa_next_free_sgpr 9
		.amdhsa_accum_offset 8
		.amdhsa_reserve_vcc 1
		.amdhsa_reserve_flat_scratch 0
		.amdhsa_float_round_mode_32 0
		.amdhsa_float_round_mode_16_64 0
		.amdhsa_float_denorm_mode_32 3
		.amdhsa_float_denorm_mode_16_64 3
		.amdhsa_dx10_clamp 1
		.amdhsa_ieee_mode 1
		.amdhsa_fp16_overflow 0
		.amdhsa_tg_split 0
		.amdhsa_exception_fp_ieee_invalid_op 0
		.amdhsa_exception_fp_denorm_src 0
		.amdhsa_exception_fp_ieee_div_zero 0
		.amdhsa_exception_fp_ieee_overflow 0
		.amdhsa_exception_fp_ieee_underflow 0
		.amdhsa_exception_fp_ieee_inexact 0
		.amdhsa_exception_int_div_zero 0
	.end_amdhsa_kernel
	.section	.text._Z24warp_reduce_valid_kernelIiLj63ELj7EENSt9enable_ifIXsr10test_utilsE35device_test_enabled_for_warp_size_vIXT1_EEEvE4typeEPT_S4_i,"axG",@progbits,_Z24warp_reduce_valid_kernelIiLj63ELj7EENSt9enable_ifIXsr10test_utilsE35device_test_enabled_for_warp_size_vIXT1_EEEvE4typeEPT_S4_i,comdat
.Lfunc_end81:
	.size	_Z24warp_reduce_valid_kernelIiLj63ELj7EENSt9enable_ifIXsr10test_utilsE35device_test_enabled_for_warp_size_vIXT1_EEEvE4typeEPT_S4_i, .Lfunc_end81-_Z24warp_reduce_valid_kernelIiLj63ELj7EENSt9enable_ifIXsr10test_utilsE35device_test_enabled_for_warp_size_vIXT1_EEEvE4typeEPT_S4_i
                                        ; -- End function
	.section	.AMDGPU.csdata,"",@progbits
; Kernel info:
; codeLenInByte = 432
; NumSgprs: 13
; NumVgprs: 8
; NumAgprs: 0
; TotalNumVgprs: 8
; ScratchSize: 0
; MemoryBound: 0
; FloatMode: 240
; IeeeMode: 1
; LDSByteSize: 252 bytes/workgroup (compile time only)
; SGPRBlocks: 1
; VGPRBlocks: 0
; NumSGPRsForWavesPerEU: 13
; NumVGPRsForWavesPerEU: 8
; AccumOffset: 8
; Occupancy: 8
; WaveLimiterHint : 0
; COMPUTE_PGM_RSRC2:SCRATCH_EN: 0
; COMPUTE_PGM_RSRC2:USER_SGPR: 6
; COMPUTE_PGM_RSRC2:TRAP_HANDLER: 0
; COMPUTE_PGM_RSRC2:TGID_X_EN: 1
; COMPUTE_PGM_RSRC2:TGID_Y_EN: 0
; COMPUTE_PGM_RSRC2:TGID_Z_EN: 0
; COMPUTE_PGM_RSRC2:TIDIG_COMP_CNT: 0
; COMPUTE_PGM_RSRC3_GFX90A:ACCUM_OFFSET: 1
; COMPUTE_PGM_RSRC3_GFX90A:TG_SPLIT: 0
	.section	.text._Z24warp_reduce_valid_kernelIiLj30ELj3EENSt9enable_ifIXsr10test_utilsE35device_test_enabled_for_warp_size_vIXT1_EEEvE4typeEPT_S4_i,"axG",@progbits,_Z24warp_reduce_valid_kernelIiLj30ELj3EENSt9enable_ifIXsr10test_utilsE35device_test_enabled_for_warp_size_vIXT1_EEEvE4typeEPT_S4_i,comdat
	.protected	_Z24warp_reduce_valid_kernelIiLj30ELj3EENSt9enable_ifIXsr10test_utilsE35device_test_enabled_for_warp_size_vIXT1_EEEvE4typeEPT_S4_i ; -- Begin function _Z24warp_reduce_valid_kernelIiLj30ELj3EENSt9enable_ifIXsr10test_utilsE35device_test_enabled_for_warp_size_vIXT1_EEEvE4typeEPT_S4_i
	.globl	_Z24warp_reduce_valid_kernelIiLj30ELj3EENSt9enable_ifIXsr10test_utilsE35device_test_enabled_for_warp_size_vIXT1_EEEvE4typeEPT_S4_i
	.p2align	8
	.type	_Z24warp_reduce_valid_kernelIiLj30ELj3EENSt9enable_ifIXsr10test_utilsE35device_test_enabled_for_warp_size_vIXT1_EEEvE4typeEPT_S4_i,@function
_Z24warp_reduce_valid_kernelIiLj30ELj3EENSt9enable_ifIXsr10test_utilsE35device_test_enabled_for_warp_size_vIXT1_EEEvE4typeEPT_S4_i: ; @_Z24warp_reduce_valid_kernelIiLj30ELj3EENSt9enable_ifIXsr10test_utilsE35device_test_enabled_for_warp_size_vIXT1_EEEvE4typeEPT_S4_i
; %bb.0:
	s_load_dword s8, s[4:5], 0x24
	s_load_dwordx4 s[0:3], s[4:5], 0x0
	s_load_dword s7, s[4:5], 0x10
	v_mov_b32_e32 v3, 0
	s_waitcnt lgkmcnt(0)
	s_and_b32 s4, s8, 0xffff
	s_mul_i32 s6, s6, s4
	v_add_u32_e32 v2, s6, v0
	v_lshlrev_b64 v[4:5], 2, v[2:3]
	v_mov_b32_e32 v1, s1
	v_add_co_u32_e32 v4, vcc, s0, v4
	v_addc_co_u32_e32 v5, vcc, v1, v5, vcc
	global_load_dword v1, v[4:5], off
	v_mbcnt_lo_u32_b32 v3, -1, 0
	s_mov_b32 s0, 0x55555556
	v_mul_u32_u24_e32 v4, 0x5556, v0
	v_mbcnt_hi_u32_b32 v6, -1, v3
	v_lshrrev_b32_e32 v3, 16, v4
	v_mul_hi_u32 v4, v6, s0
	v_mul_u32_u24_e32 v4, 3, v4
	v_sub_u32_e32 v6, v6, v4
	v_add_u32_e32 v7, 2, v6
	v_lshlrev_b32_e32 v4, 2, v6
	v_cmp_eq_u32_e32 vcc, 0, v6
	v_cmp_gt_u32_e64 s[0:1], s7, v7
	v_mul_u32_u24_e32 v5, 12, v3
	v_mad_u32_u24 v4, v3, 12, v4
	s_and_b64 s[0:1], vcc, s[0:1]
	s_waitcnt vmcnt(0)
	ds_write_b32 v4, v1
	; wave barrier
	s_and_saveexec_b64 s[4:5], s[0:1]
	s_cbranch_execz .LBB82_2
; %bb.1:
	ds_read_b32 v1, v4
	ds_read_b32 v7, v5 offset:8
	s_waitcnt lgkmcnt(0)
	v_add_u32_e32 v1, v7, v1
.LBB82_2:
	s_or_b64 exec, exec, s[4:5]
	; wave barrier
	s_and_saveexec_b64 s[4:5], s[0:1]
	s_cbranch_execz .LBB82_4
; %bb.3:
	ds_write_b32 v4, v1
.LBB82_4:
	s_or_b64 exec, exec, s[4:5]
	v_add_u32_e32 v6, 1, v6
	v_cmp_gt_u32_e64 s[0:1], s7, v6
	s_and_b64 s[0:1], vcc, s[0:1]
	; wave barrier
	s_and_saveexec_b64 s[4:5], s[0:1]
	s_cbranch_execz .LBB82_6
; %bb.5:
	ds_read_b32 v1, v4
	ds_read_b32 v5, v5 offset:4
	s_waitcnt lgkmcnt(0)
	v_add_u32_e32 v1, v5, v1
.LBB82_6:
	s_or_b64 exec, exec, s[4:5]
	; wave barrier
	s_and_saveexec_b64 s[4:5], s[0:1]
	s_cbranch_execz .LBB82_8
; %bb.7:
	ds_write_b32 v4, v1
.LBB82_8:
	s_or_b64 exec, exec, s[4:5]
	v_mul_lo_u16_e32 v3, 3, v3
	v_sub_u16_e32 v0, v0, v3
	v_cmp_eq_u16_e32 vcc, 0, v0
	; wave barrier
	s_and_saveexec_b64 s[0:1], vcc
	s_cbranch_execz .LBB82_10
; %bb.9:
	s_mov_b32 s0, 0xaaaaaaab
	v_mul_hi_u32 v0, v2, s0
	v_lshrrev_b32_e32 v2, 1, v0
	v_mov_b32_e32 v3, 0
	v_lshlrev_b64 v[2:3], 2, v[2:3]
	v_mov_b32_e32 v0, s3
	v_add_co_u32_e32 v2, vcc, s2, v2
	v_addc_co_u32_e32 v3, vcc, v0, v3, vcc
	global_store_dword v[2:3], v1, off
.LBB82_10:
	s_endpgm
	.section	.rodata,"a",@progbits
	.p2align	6, 0x0
	.amdhsa_kernel _Z24warp_reduce_valid_kernelIiLj30ELj3EENSt9enable_ifIXsr10test_utilsE35device_test_enabled_for_warp_size_vIXT1_EEEvE4typeEPT_S4_i
		.amdhsa_group_segment_fixed_size 120
		.amdhsa_private_segment_fixed_size 0
		.amdhsa_kernarg_size 280
		.amdhsa_user_sgpr_count 6
		.amdhsa_user_sgpr_private_segment_buffer 1
		.amdhsa_user_sgpr_dispatch_ptr 0
		.amdhsa_user_sgpr_queue_ptr 0
		.amdhsa_user_sgpr_kernarg_segment_ptr 1
		.amdhsa_user_sgpr_dispatch_id 0
		.amdhsa_user_sgpr_flat_scratch_init 0
		.amdhsa_user_sgpr_kernarg_preload_length 0
		.amdhsa_user_sgpr_kernarg_preload_offset 0
		.amdhsa_user_sgpr_private_segment_size 0
		.amdhsa_uses_dynamic_stack 0
		.amdhsa_system_sgpr_private_segment_wavefront_offset 0
		.amdhsa_system_sgpr_workgroup_id_x 1
		.amdhsa_system_sgpr_workgroup_id_y 0
		.amdhsa_system_sgpr_workgroup_id_z 0
		.amdhsa_system_sgpr_workgroup_info 0
		.amdhsa_system_vgpr_workitem_id 0
		.amdhsa_next_free_vgpr 8
		.amdhsa_next_free_sgpr 9
		.amdhsa_accum_offset 8
		.amdhsa_reserve_vcc 1
		.amdhsa_reserve_flat_scratch 0
		.amdhsa_float_round_mode_32 0
		.amdhsa_float_round_mode_16_64 0
		.amdhsa_float_denorm_mode_32 3
		.amdhsa_float_denorm_mode_16_64 3
		.amdhsa_dx10_clamp 1
		.amdhsa_ieee_mode 1
		.amdhsa_fp16_overflow 0
		.amdhsa_tg_split 0
		.amdhsa_exception_fp_ieee_invalid_op 0
		.amdhsa_exception_fp_denorm_src 0
		.amdhsa_exception_fp_ieee_div_zero 0
		.amdhsa_exception_fp_ieee_overflow 0
		.amdhsa_exception_fp_ieee_underflow 0
		.amdhsa_exception_fp_ieee_inexact 0
		.amdhsa_exception_int_div_zero 0
	.end_amdhsa_kernel
	.section	.text._Z24warp_reduce_valid_kernelIiLj30ELj3EENSt9enable_ifIXsr10test_utilsE35device_test_enabled_for_warp_size_vIXT1_EEEvE4typeEPT_S4_i,"axG",@progbits,_Z24warp_reduce_valid_kernelIiLj30ELj3EENSt9enable_ifIXsr10test_utilsE35device_test_enabled_for_warp_size_vIXT1_EEEvE4typeEPT_S4_i,comdat
.Lfunc_end82:
	.size	_Z24warp_reduce_valid_kernelIiLj30ELj3EENSt9enable_ifIXsr10test_utilsE35device_test_enabled_for_warp_size_vIXT1_EEEvE4typeEPT_S4_i, .Lfunc_end82-_Z24warp_reduce_valid_kernelIiLj30ELj3EENSt9enable_ifIXsr10test_utilsE35device_test_enabled_for_warp_size_vIXT1_EEEvE4typeEPT_S4_i
                                        ; -- End function
	.section	.AMDGPU.csdata,"",@progbits
; Kernel info:
; codeLenInByte = 380
; NumSgprs: 13
; NumVgprs: 8
; NumAgprs: 0
; TotalNumVgprs: 8
; ScratchSize: 0
; MemoryBound: 0
; FloatMode: 240
; IeeeMode: 1
; LDSByteSize: 120 bytes/workgroup (compile time only)
; SGPRBlocks: 1
; VGPRBlocks: 0
; NumSGPRsForWavesPerEU: 13
; NumVGPRsForWavesPerEU: 8
; AccumOffset: 8
; Occupancy: 8
; WaveLimiterHint : 0
; COMPUTE_PGM_RSRC2:SCRATCH_EN: 0
; COMPUTE_PGM_RSRC2:USER_SGPR: 6
; COMPUTE_PGM_RSRC2:TRAP_HANDLER: 0
; COMPUTE_PGM_RSRC2:TGID_X_EN: 1
; COMPUTE_PGM_RSRC2:TGID_Y_EN: 0
; COMPUTE_PGM_RSRC2:TGID_Z_EN: 0
; COMPUTE_PGM_RSRC2:TIDIG_COMP_CNT: 0
; COMPUTE_PGM_RSRC3_GFX90A:ACCUM_OFFSET: 1
; COMPUTE_PGM_RSRC3_GFX90A:TG_SPLIT: 0
	.section	.text._Z24warp_reduce_valid_kernelIiLj63ELj3EENSt9enable_ifIXsr10test_utilsE35device_test_enabled_for_warp_size_vIXT1_EEEvE4typeEPT_S4_i,"axG",@progbits,_Z24warp_reduce_valid_kernelIiLj63ELj3EENSt9enable_ifIXsr10test_utilsE35device_test_enabled_for_warp_size_vIXT1_EEEvE4typeEPT_S4_i,comdat
	.protected	_Z24warp_reduce_valid_kernelIiLj63ELj3EENSt9enable_ifIXsr10test_utilsE35device_test_enabled_for_warp_size_vIXT1_EEEvE4typeEPT_S4_i ; -- Begin function _Z24warp_reduce_valid_kernelIiLj63ELj3EENSt9enable_ifIXsr10test_utilsE35device_test_enabled_for_warp_size_vIXT1_EEEvE4typeEPT_S4_i
	.globl	_Z24warp_reduce_valid_kernelIiLj63ELj3EENSt9enable_ifIXsr10test_utilsE35device_test_enabled_for_warp_size_vIXT1_EEEvE4typeEPT_S4_i
	.p2align	8
	.type	_Z24warp_reduce_valid_kernelIiLj63ELj3EENSt9enable_ifIXsr10test_utilsE35device_test_enabled_for_warp_size_vIXT1_EEEvE4typeEPT_S4_i,@function
_Z24warp_reduce_valid_kernelIiLj63ELj3EENSt9enable_ifIXsr10test_utilsE35device_test_enabled_for_warp_size_vIXT1_EEEvE4typeEPT_S4_i: ; @_Z24warp_reduce_valid_kernelIiLj63ELj3EENSt9enable_ifIXsr10test_utilsE35device_test_enabled_for_warp_size_vIXT1_EEEvE4typeEPT_S4_i
; %bb.0:
	s_load_dword s8, s[4:5], 0x24
	s_load_dwordx4 s[0:3], s[4:5], 0x0
	s_load_dword s7, s[4:5], 0x10
	v_mov_b32_e32 v3, 0
	s_waitcnt lgkmcnt(0)
	s_and_b32 s4, s8, 0xffff
	s_mul_i32 s6, s6, s4
	v_add_u32_e32 v2, s6, v0
	v_lshlrev_b64 v[4:5], 2, v[2:3]
	v_mov_b32_e32 v1, s1
	v_add_co_u32_e32 v4, vcc, s0, v4
	v_addc_co_u32_e32 v5, vcc, v1, v5, vcc
	global_load_dword v1, v[4:5], off
	v_mbcnt_lo_u32_b32 v3, -1, 0
	s_mov_b32 s0, 0x55555556
	v_mul_u32_u24_e32 v4, 0x5556, v0
	v_mbcnt_hi_u32_b32 v6, -1, v3
	v_lshrrev_b32_e32 v3, 16, v4
	v_mul_hi_u32 v4, v6, s0
	v_mul_u32_u24_e32 v4, 3, v4
	v_sub_u32_e32 v6, v6, v4
	v_add_u32_e32 v7, 2, v6
	v_lshlrev_b32_e32 v4, 2, v6
	v_cmp_eq_u32_e32 vcc, 0, v6
	v_cmp_gt_u32_e64 s[0:1], s7, v7
	v_mul_u32_u24_e32 v5, 12, v3
	v_mad_u32_u24 v4, v3, 12, v4
	s_and_b64 s[0:1], vcc, s[0:1]
	s_waitcnt vmcnt(0)
	ds_write_b32 v4, v1
	; wave barrier
	s_and_saveexec_b64 s[4:5], s[0:1]
	s_cbranch_execz .LBB83_2
; %bb.1:
	ds_read_b32 v1, v4
	ds_read_b32 v7, v5 offset:8
	s_waitcnt lgkmcnt(0)
	v_add_u32_e32 v1, v7, v1
.LBB83_2:
	s_or_b64 exec, exec, s[4:5]
	; wave barrier
	s_and_saveexec_b64 s[4:5], s[0:1]
	s_cbranch_execz .LBB83_4
; %bb.3:
	ds_write_b32 v4, v1
.LBB83_4:
	s_or_b64 exec, exec, s[4:5]
	v_add_u32_e32 v6, 1, v6
	v_cmp_gt_u32_e64 s[0:1], s7, v6
	s_and_b64 s[0:1], vcc, s[0:1]
	; wave barrier
	s_and_saveexec_b64 s[4:5], s[0:1]
	s_cbranch_execz .LBB83_6
; %bb.5:
	ds_read_b32 v1, v4
	ds_read_b32 v5, v5 offset:4
	s_waitcnt lgkmcnt(0)
	v_add_u32_e32 v1, v5, v1
.LBB83_6:
	s_or_b64 exec, exec, s[4:5]
	; wave barrier
	s_and_saveexec_b64 s[4:5], s[0:1]
	s_cbranch_execz .LBB83_8
; %bb.7:
	ds_write_b32 v4, v1
.LBB83_8:
	s_or_b64 exec, exec, s[4:5]
	v_mul_lo_u16_e32 v3, 3, v3
	v_sub_u16_e32 v0, v0, v3
	v_cmp_eq_u16_e32 vcc, 0, v0
	; wave barrier
	s_and_saveexec_b64 s[0:1], vcc
	s_cbranch_execz .LBB83_10
; %bb.9:
	s_mov_b32 s0, 0xaaaaaaab
	v_mul_hi_u32 v0, v2, s0
	v_lshrrev_b32_e32 v2, 1, v0
	v_mov_b32_e32 v3, 0
	v_lshlrev_b64 v[2:3], 2, v[2:3]
	v_mov_b32_e32 v0, s3
	v_add_co_u32_e32 v2, vcc, s2, v2
	v_addc_co_u32_e32 v3, vcc, v0, v3, vcc
	global_store_dword v[2:3], v1, off
.LBB83_10:
	s_endpgm
	.section	.rodata,"a",@progbits
	.p2align	6, 0x0
	.amdhsa_kernel _Z24warp_reduce_valid_kernelIiLj63ELj3EENSt9enable_ifIXsr10test_utilsE35device_test_enabled_for_warp_size_vIXT1_EEEvE4typeEPT_S4_i
		.amdhsa_group_segment_fixed_size 252
		.amdhsa_private_segment_fixed_size 0
		.amdhsa_kernarg_size 280
		.amdhsa_user_sgpr_count 6
		.amdhsa_user_sgpr_private_segment_buffer 1
		.amdhsa_user_sgpr_dispatch_ptr 0
		.amdhsa_user_sgpr_queue_ptr 0
		.amdhsa_user_sgpr_kernarg_segment_ptr 1
		.amdhsa_user_sgpr_dispatch_id 0
		.amdhsa_user_sgpr_flat_scratch_init 0
		.amdhsa_user_sgpr_kernarg_preload_length 0
		.amdhsa_user_sgpr_kernarg_preload_offset 0
		.amdhsa_user_sgpr_private_segment_size 0
		.amdhsa_uses_dynamic_stack 0
		.amdhsa_system_sgpr_private_segment_wavefront_offset 0
		.amdhsa_system_sgpr_workgroup_id_x 1
		.amdhsa_system_sgpr_workgroup_id_y 0
		.amdhsa_system_sgpr_workgroup_id_z 0
		.amdhsa_system_sgpr_workgroup_info 0
		.amdhsa_system_vgpr_workitem_id 0
		.amdhsa_next_free_vgpr 8
		.amdhsa_next_free_sgpr 9
		.amdhsa_accum_offset 8
		.amdhsa_reserve_vcc 1
		.amdhsa_reserve_flat_scratch 0
		.amdhsa_float_round_mode_32 0
		.amdhsa_float_round_mode_16_64 0
		.amdhsa_float_denorm_mode_32 3
		.amdhsa_float_denorm_mode_16_64 3
		.amdhsa_dx10_clamp 1
		.amdhsa_ieee_mode 1
		.amdhsa_fp16_overflow 0
		.amdhsa_tg_split 0
		.amdhsa_exception_fp_ieee_invalid_op 0
		.amdhsa_exception_fp_denorm_src 0
		.amdhsa_exception_fp_ieee_div_zero 0
		.amdhsa_exception_fp_ieee_overflow 0
		.amdhsa_exception_fp_ieee_underflow 0
		.amdhsa_exception_fp_ieee_inexact 0
		.amdhsa_exception_int_div_zero 0
	.end_amdhsa_kernel
	.section	.text._Z24warp_reduce_valid_kernelIiLj63ELj3EENSt9enable_ifIXsr10test_utilsE35device_test_enabled_for_warp_size_vIXT1_EEEvE4typeEPT_S4_i,"axG",@progbits,_Z24warp_reduce_valid_kernelIiLj63ELj3EENSt9enable_ifIXsr10test_utilsE35device_test_enabled_for_warp_size_vIXT1_EEEvE4typeEPT_S4_i,comdat
.Lfunc_end83:
	.size	_Z24warp_reduce_valid_kernelIiLj63ELj3EENSt9enable_ifIXsr10test_utilsE35device_test_enabled_for_warp_size_vIXT1_EEEvE4typeEPT_S4_i, .Lfunc_end83-_Z24warp_reduce_valid_kernelIiLj63ELj3EENSt9enable_ifIXsr10test_utilsE35device_test_enabled_for_warp_size_vIXT1_EEEvE4typeEPT_S4_i
                                        ; -- End function
	.section	.AMDGPU.csdata,"",@progbits
; Kernel info:
; codeLenInByte = 380
; NumSgprs: 13
; NumVgprs: 8
; NumAgprs: 0
; TotalNumVgprs: 8
; ScratchSize: 0
; MemoryBound: 0
; FloatMode: 240
; IeeeMode: 1
; LDSByteSize: 252 bytes/workgroup (compile time only)
; SGPRBlocks: 1
; VGPRBlocks: 0
; NumSGPRsForWavesPerEU: 13
; NumVGPRsForWavesPerEU: 8
; AccumOffset: 8
; Occupancy: 8
; WaveLimiterHint : 0
; COMPUTE_PGM_RSRC2:SCRATCH_EN: 0
; COMPUTE_PGM_RSRC2:USER_SGPR: 6
; COMPUTE_PGM_RSRC2:TRAP_HANDLER: 0
; COMPUTE_PGM_RSRC2:TGID_X_EN: 1
; COMPUTE_PGM_RSRC2:TGID_Y_EN: 0
; COMPUTE_PGM_RSRC2:TGID_Z_EN: 0
; COMPUTE_PGM_RSRC2:TIDIG_COMP_CNT: 0
; COMPUTE_PGM_RSRC3_GFX90A:ACCUM_OFFSET: 1
; COMPUTE_PGM_RSRC3_GFX90A:TG_SPLIT: 0
	.section	.text._Z24warp_reduce_valid_kernelI12hip_bfloat16Lj256ELj64EENSt9enable_ifIXsr10test_utilsE35device_test_enabled_for_warp_size_vIXT1_EEEvE4typeEPT_S5_i,"axG",@progbits,_Z24warp_reduce_valid_kernelI12hip_bfloat16Lj256ELj64EENSt9enable_ifIXsr10test_utilsE35device_test_enabled_for_warp_size_vIXT1_EEEvE4typeEPT_S5_i,comdat
	.protected	_Z24warp_reduce_valid_kernelI12hip_bfloat16Lj256ELj64EENSt9enable_ifIXsr10test_utilsE35device_test_enabled_for_warp_size_vIXT1_EEEvE4typeEPT_S5_i ; -- Begin function _Z24warp_reduce_valid_kernelI12hip_bfloat16Lj256ELj64EENSt9enable_ifIXsr10test_utilsE35device_test_enabled_for_warp_size_vIXT1_EEEvE4typeEPT_S5_i
	.globl	_Z24warp_reduce_valid_kernelI12hip_bfloat16Lj256ELj64EENSt9enable_ifIXsr10test_utilsE35device_test_enabled_for_warp_size_vIXT1_EEEvE4typeEPT_S5_i
	.p2align	8
	.type	_Z24warp_reduce_valid_kernelI12hip_bfloat16Lj256ELj64EENSt9enable_ifIXsr10test_utilsE35device_test_enabled_for_warp_size_vIXT1_EEEvE4typeEPT_S5_i,@function
_Z24warp_reduce_valid_kernelI12hip_bfloat16Lj256ELj64EENSt9enable_ifIXsr10test_utilsE35device_test_enabled_for_warp_size_vIXT1_EEEvE4typeEPT_S5_i: ; @_Z24warp_reduce_valid_kernelI12hip_bfloat16Lj256ELj64EENSt9enable_ifIXsr10test_utilsE35device_test_enabled_for_warp_size_vIXT1_EEEvE4typeEPT_S5_i
; %bb.0:
	s_load_dword s8, s[4:5], 0x24
	s_load_dwordx4 s[0:3], s[4:5], 0x0
	s_load_dword s7, s[4:5], 0x10
	v_mov_b32_e32 v3, 0
	s_waitcnt lgkmcnt(0)
	s_and_b32 s4, s8, 0xffff
	s_mul_i32 s6, s6, s4
	v_add_u32_e32 v2, s6, v0
	v_lshlrev_b64 v[4:5], 1, v[2:3]
	v_mov_b32_e32 v1, s1
	v_add_co_u32_e32 v4, vcc, s0, v4
	v_addc_co_u32_e32 v5, vcc, v1, v5, vcc
	global_load_ushort v4, v[4:5], off
	v_mbcnt_lo_u32_b32 v1, -1, 0
	v_mbcnt_hi_u32_b32 v1, -1, v1
	v_and_b32_e32 v3, 63, v1
	v_cmp_ne_u32_e32 vcc, 63, v3
	v_addc_co_u32_e32 v6, vcc, 0, v1, vcc
	v_lshlrev_b32_e32 v6, 2, v6
	v_add_u32_e32 v7, 1, v1
	v_cmp_gt_u32_e32 vcc, s7, v7
	s_waitcnt vmcnt(0)
	v_and_b32_e32 v5, 0xffff, v4
	ds_bpermute_b32 v6, v6, v5
	s_and_saveexec_b64 s[0:1], vcc
	s_cbranch_execz .LBB84_6
; %bb.1:
	s_waitcnt lgkmcnt(0)
	v_lshlrev_b32_e32 v4, 16, v6
	v_lshlrev_b32_e32 v6, 16, v5
	v_pk_add_f32 v[4:5], v[4:5], v[6:7] op_sel_hi:[0,1]
	s_mov_b32 s4, 0x7f800000
	v_and_b32_e32 v5, 0x7f800000, v4
	v_cmp_ne_u32_e32 vcc, s4, v5
                                        ; implicit-def: $vgpr6
	s_and_saveexec_b64 s[4:5], vcc
	s_xor_b64 s[4:5], exec, s[4:5]
; %bb.2:
	v_bfe_u32 v5, v4, 16, 1
	s_movk_i32 s6, 0x7fff
	v_add3_u32 v6, v4, v5, s6
                                        ; implicit-def: $vgpr4_vgpr5
; %bb.3:
	s_andn2_saveexec_b64 s[4:5], s[4:5]
; %bb.4:
	v_mov_b32_e32 v5, 0
	v_or_b32_e32 v6, 0x10000, v4
	v_cmp_eq_u32_sdwa vcc, v4, v5 src0_sel:WORD_0 src1_sel:DWORD
	v_cndmask_b32_e32 v6, v6, v4, vcc
; %bb.5:
	s_or_b64 exec, exec, s[4:5]
	v_lshrrev_b32_e32 v5, 16, v6
	v_mov_b32_e32 v4, v5
.LBB84_6:
	s_or_b64 exec, exec, s[0:1]
	v_cmp_gt_u32_e32 vcc, 62, v3
	s_waitcnt lgkmcnt(0)
	v_cndmask_b32_e64 v6, 0, 1, vcc
	v_lshlrev_b32_e32 v6, 1, v6
	v_add_lshl_u32 v6, v6, v1, 2
	ds_bpermute_b32 v6, v6, v5
	v_add_u32_e32 v7, 2, v1
	v_cmp_gt_u32_e32 vcc, s7, v7
	s_and_saveexec_b64 s[0:1], vcc
	s_cbranch_execz .LBB84_12
; %bb.7:
	s_waitcnt lgkmcnt(0)
	v_lshlrev_b32_e32 v4, 16, v6
	v_lshlrev_b32_e32 v6, 16, v5
	v_pk_add_f32 v[4:5], v[4:5], v[6:7] op_sel_hi:[0,1]
	s_mov_b32 s4, 0x7f800000
	v_and_b32_e32 v5, 0x7f800000, v4
	v_cmp_ne_u32_e32 vcc, s4, v5
                                        ; implicit-def: $vgpr6
	s_and_saveexec_b64 s[4:5], vcc
	s_xor_b64 s[4:5], exec, s[4:5]
; %bb.8:
	v_bfe_u32 v5, v4, 16, 1
	s_movk_i32 s6, 0x7fff
	v_add3_u32 v6, v4, v5, s6
                                        ; implicit-def: $vgpr4_vgpr5
; %bb.9:
	s_andn2_saveexec_b64 s[4:5], s[4:5]
; %bb.10:
	v_mov_b32_e32 v5, 0
	v_or_b32_e32 v6, 0x10000, v4
	v_cmp_eq_u32_sdwa vcc, v4, v5 src0_sel:WORD_0 src1_sel:DWORD
	v_cndmask_b32_e32 v6, v6, v4, vcc
; %bb.11:
	s_or_b64 exec, exec, s[4:5]
	v_lshrrev_b32_e32 v5, 16, v6
	v_mov_b32_e32 v4, v5
.LBB84_12:
	s_or_b64 exec, exec, s[0:1]
	v_cmp_gt_u32_e32 vcc, 60, v3
	s_waitcnt lgkmcnt(0)
	v_cndmask_b32_e64 v6, 0, 1, vcc
	v_lshlrev_b32_e32 v6, 2, v6
	v_add_lshl_u32 v6, v6, v1, 2
	ds_bpermute_b32 v6, v6, v5
	v_add_u32_e32 v7, 4, v1
	v_cmp_gt_u32_e32 vcc, s7, v7
	;; [unrolled: 39-line block ×4, first 2 shown]
	s_and_saveexec_b64 s[0:1], vcc
	s_cbranch_execz .LBB84_30
; %bb.25:
	s_waitcnt lgkmcnt(0)
	v_lshlrev_b32_e32 v4, 16, v6
	v_lshlrev_b32_e32 v6, 16, v5
	v_pk_add_f32 v[4:5], v[4:5], v[6:7] op_sel_hi:[0,1]
	s_mov_b32 s4, 0x7f800000
	v_and_b32_e32 v5, 0x7f800000, v4
	v_cmp_ne_u32_e32 vcc, s4, v5
                                        ; implicit-def: $vgpr6
	s_and_saveexec_b64 s[4:5], vcc
	s_xor_b64 s[4:5], exec, s[4:5]
; %bb.26:
	v_bfe_u32 v5, v4, 16, 1
	s_movk_i32 s6, 0x7fff
	v_add3_u32 v6, v4, v5, s6
                                        ; implicit-def: $vgpr4_vgpr5
; %bb.27:
	s_andn2_saveexec_b64 s[4:5], s[4:5]
; %bb.28:
	v_mov_b32_e32 v5, 0
	v_or_b32_e32 v6, 0x10000, v4
	v_cmp_eq_u32_sdwa vcc, v4, v5 src0_sel:WORD_0 src1_sel:DWORD
	v_cndmask_b32_e32 v6, v6, v4, vcc
; %bb.29:
	s_or_b64 exec, exec, s[4:5]
	v_lshrrev_b32_e32 v5, 16, v6
	v_mov_b32_e32 v4, v5
.LBB84_30:
	s_or_b64 exec, exec, s[0:1]
	v_cmp_gt_u32_e32 vcc, 32, v3
	v_cndmask_b32_e64 v3, 0, 1, vcc
	v_lshlrev_b32_e32 v3, 5, v3
	v_add_lshl_u32 v3, v3, v1, 2
	ds_bpermute_b32 v3, v3, v5
	v_add_u32_e32 v1, 32, v1
	v_cmp_gt_u32_e32 vcc, s7, v1
	s_and_saveexec_b64 s[0:1], vcc
	s_cbranch_execz .LBB84_36
; %bb.31:
	s_waitcnt lgkmcnt(0)
	v_lshlrev_b32_e32 v4, 16, v3
	v_lshlrev_b32_e32 v6, 16, v5
	v_pk_add_f32 v[4:5], v[4:5], v[6:7] op_sel_hi:[0,1]
	s_mov_b32 s4, 0x7f800000
	v_and_b32_e32 v1, 0x7f800000, v4
	v_cmp_ne_u32_e32 vcc, s4, v1
                                        ; implicit-def: $vgpr1
	s_and_saveexec_b64 s[4:5], vcc
	s_xor_b64 s[4:5], exec, s[4:5]
; %bb.32:
	v_bfe_u32 v1, v4, 16, 1
	s_movk_i32 s6, 0x7fff
	v_add3_u32 v1, v4, v1, s6
                                        ; implicit-def: $vgpr4_vgpr5
; %bb.33:
	s_andn2_saveexec_b64 s[4:5], s[4:5]
; %bb.34:
	v_mov_b32_e32 v1, 0
	v_or_b32_e32 v3, 0x10000, v4
	v_cmp_eq_u32_sdwa vcc, v4, v1 src0_sel:WORD_0 src1_sel:DWORD
	v_cndmask_b32_e32 v1, v3, v4, vcc
; %bb.35:
	s_or_b64 exec, exec, s[4:5]
	v_lshrrev_b32_e32 v4, 16, v1
.LBB84_36:
	s_or_b64 exec, exec, s[0:1]
	v_and_b32_e32 v0, 63, v0
	v_cmp_eq_u32_e32 vcc, 0, v0
	s_and_saveexec_b64 s[0:1], vcc
	s_cbranch_execz .LBB84_38
; %bb.37:
	v_lshrrev_b32_e32 v0, 5, v2
	v_and_b32_e32 v0, 0x7fffffe, v0
	global_store_short v0, v4, s[2:3]
.LBB84_38:
	s_endpgm
	.section	.rodata,"a",@progbits
	.p2align	6, 0x0
	.amdhsa_kernel _Z24warp_reduce_valid_kernelI12hip_bfloat16Lj256ELj64EENSt9enable_ifIXsr10test_utilsE35device_test_enabled_for_warp_size_vIXT1_EEEvE4typeEPT_S5_i
		.amdhsa_group_segment_fixed_size 0
		.amdhsa_private_segment_fixed_size 0
		.amdhsa_kernarg_size 280
		.amdhsa_user_sgpr_count 6
		.amdhsa_user_sgpr_private_segment_buffer 1
		.amdhsa_user_sgpr_dispatch_ptr 0
		.amdhsa_user_sgpr_queue_ptr 0
		.amdhsa_user_sgpr_kernarg_segment_ptr 1
		.amdhsa_user_sgpr_dispatch_id 0
		.amdhsa_user_sgpr_flat_scratch_init 0
		.amdhsa_user_sgpr_kernarg_preload_length 0
		.amdhsa_user_sgpr_kernarg_preload_offset 0
		.amdhsa_user_sgpr_private_segment_size 0
		.amdhsa_uses_dynamic_stack 0
		.amdhsa_system_sgpr_private_segment_wavefront_offset 0
		.amdhsa_system_sgpr_workgroup_id_x 1
		.amdhsa_system_sgpr_workgroup_id_y 0
		.amdhsa_system_sgpr_workgroup_id_z 0
		.amdhsa_system_sgpr_workgroup_info 0
		.amdhsa_system_vgpr_workitem_id 0
		.amdhsa_next_free_vgpr 8
		.amdhsa_next_free_sgpr 9
		.amdhsa_accum_offset 8
		.amdhsa_reserve_vcc 1
		.amdhsa_reserve_flat_scratch 0
		.amdhsa_float_round_mode_32 0
		.amdhsa_float_round_mode_16_64 0
		.amdhsa_float_denorm_mode_32 3
		.amdhsa_float_denorm_mode_16_64 3
		.amdhsa_dx10_clamp 1
		.amdhsa_ieee_mode 1
		.amdhsa_fp16_overflow 0
		.amdhsa_tg_split 0
		.amdhsa_exception_fp_ieee_invalid_op 0
		.amdhsa_exception_fp_denorm_src 0
		.amdhsa_exception_fp_ieee_div_zero 0
		.amdhsa_exception_fp_ieee_overflow 0
		.amdhsa_exception_fp_ieee_underflow 0
		.amdhsa_exception_fp_ieee_inexact 0
		.amdhsa_exception_int_div_zero 0
	.end_amdhsa_kernel
	.section	.text._Z24warp_reduce_valid_kernelI12hip_bfloat16Lj256ELj64EENSt9enable_ifIXsr10test_utilsE35device_test_enabled_for_warp_size_vIXT1_EEEvE4typeEPT_S5_i,"axG",@progbits,_Z24warp_reduce_valid_kernelI12hip_bfloat16Lj256ELj64EENSt9enable_ifIXsr10test_utilsE35device_test_enabled_for_warp_size_vIXT1_EEEvE4typeEPT_S5_i,comdat
.Lfunc_end84:
	.size	_Z24warp_reduce_valid_kernelI12hip_bfloat16Lj256ELj64EENSt9enable_ifIXsr10test_utilsE35device_test_enabled_for_warp_size_vIXT1_EEEvE4typeEPT_S5_i, .Lfunc_end84-_Z24warp_reduce_valid_kernelI12hip_bfloat16Lj256ELj64EENSt9enable_ifIXsr10test_utilsE35device_test_enabled_for_warp_size_vIXT1_EEEvE4typeEPT_S5_i
                                        ; -- End function
	.section	.AMDGPU.csdata,"",@progbits
; Kernel info:
; codeLenInByte = 1108
; NumSgprs: 13
; NumVgprs: 8
; NumAgprs: 0
; TotalNumVgprs: 8
; ScratchSize: 0
; MemoryBound: 0
; FloatMode: 240
; IeeeMode: 1
; LDSByteSize: 0 bytes/workgroup (compile time only)
; SGPRBlocks: 1
; VGPRBlocks: 0
; NumSGPRsForWavesPerEU: 13
; NumVGPRsForWavesPerEU: 8
; AccumOffset: 8
; Occupancy: 8
; WaveLimiterHint : 0
; COMPUTE_PGM_RSRC2:SCRATCH_EN: 0
; COMPUTE_PGM_RSRC2:USER_SGPR: 6
; COMPUTE_PGM_RSRC2:TRAP_HANDLER: 0
; COMPUTE_PGM_RSRC2:TGID_X_EN: 1
; COMPUTE_PGM_RSRC2:TGID_Y_EN: 0
; COMPUTE_PGM_RSRC2:TGID_Z_EN: 0
; COMPUTE_PGM_RSRC2:TIDIG_COMP_CNT: 0
; COMPUTE_PGM_RSRC3_GFX90A:ACCUM_OFFSET: 1
; COMPUTE_PGM_RSRC3_GFX90A:TG_SPLIT: 0
	.section	.text._Z24warp_reduce_valid_kernelI12hip_bfloat16Lj128ELj32EENSt9enable_ifIXsr10test_utilsE35device_test_enabled_for_warp_size_vIXT1_EEEvE4typeEPT_S5_i,"axG",@progbits,_Z24warp_reduce_valid_kernelI12hip_bfloat16Lj128ELj32EENSt9enable_ifIXsr10test_utilsE35device_test_enabled_for_warp_size_vIXT1_EEEvE4typeEPT_S5_i,comdat
	.protected	_Z24warp_reduce_valid_kernelI12hip_bfloat16Lj128ELj32EENSt9enable_ifIXsr10test_utilsE35device_test_enabled_for_warp_size_vIXT1_EEEvE4typeEPT_S5_i ; -- Begin function _Z24warp_reduce_valid_kernelI12hip_bfloat16Lj128ELj32EENSt9enable_ifIXsr10test_utilsE35device_test_enabled_for_warp_size_vIXT1_EEEvE4typeEPT_S5_i
	.globl	_Z24warp_reduce_valid_kernelI12hip_bfloat16Lj128ELj32EENSt9enable_ifIXsr10test_utilsE35device_test_enabled_for_warp_size_vIXT1_EEEvE4typeEPT_S5_i
	.p2align	8
	.type	_Z24warp_reduce_valid_kernelI12hip_bfloat16Lj128ELj32EENSt9enable_ifIXsr10test_utilsE35device_test_enabled_for_warp_size_vIXT1_EEEvE4typeEPT_S5_i,@function
_Z24warp_reduce_valid_kernelI12hip_bfloat16Lj128ELj32EENSt9enable_ifIXsr10test_utilsE35device_test_enabled_for_warp_size_vIXT1_EEEvE4typeEPT_S5_i: ; @_Z24warp_reduce_valid_kernelI12hip_bfloat16Lj128ELj32EENSt9enable_ifIXsr10test_utilsE35device_test_enabled_for_warp_size_vIXT1_EEEvE4typeEPT_S5_i
; %bb.0:
	s_load_dword s8, s[4:5], 0x24
	s_load_dwordx4 s[0:3], s[4:5], 0x0
	s_load_dword s7, s[4:5], 0x10
	v_mov_b32_e32 v3, 0
	s_waitcnt lgkmcnt(0)
	s_and_b32 s4, s8, 0xffff
	s_mul_i32 s6, s6, s4
	v_add_u32_e32 v2, s6, v0
	v_lshlrev_b64 v[4:5], 1, v[2:3]
	v_mov_b32_e32 v1, s1
	v_add_co_u32_e32 v4, vcc, s0, v4
	v_addc_co_u32_e32 v5, vcc, v1, v5, vcc
	global_load_ushort v4, v[4:5], off
	v_mbcnt_lo_u32_b32 v1, -1, 0
	v_mbcnt_hi_u32_b32 v3, -1, v1
	v_and_b32_e32 v1, 31, v3
	v_cmp_ne_u32_e32 vcc, 31, v1
	v_addc_co_u32_e32 v6, vcc, 0, v3, vcc
	v_lshlrev_b32_e32 v6, 2, v6
	v_add_u32_e32 v7, 1, v1
	v_cmp_gt_u32_e32 vcc, s7, v7
	s_waitcnt vmcnt(0)
	v_and_b32_e32 v5, 0xffff, v4
	ds_bpermute_b32 v6, v6, v5
	s_and_saveexec_b64 s[0:1], vcc
	s_cbranch_execz .LBB85_6
; %bb.1:
	s_waitcnt lgkmcnt(0)
	v_lshlrev_b32_e32 v4, 16, v6
	v_lshlrev_b32_e32 v6, 16, v5
	v_pk_add_f32 v[4:5], v[4:5], v[6:7] op_sel_hi:[0,1]
	s_mov_b32 s4, 0x7f800000
	v_and_b32_e32 v5, 0x7f800000, v4
	v_cmp_ne_u32_e32 vcc, s4, v5
                                        ; implicit-def: $vgpr6
	s_and_saveexec_b64 s[4:5], vcc
	s_xor_b64 s[4:5], exec, s[4:5]
; %bb.2:
	v_bfe_u32 v5, v4, 16, 1
	s_movk_i32 s6, 0x7fff
	v_add3_u32 v6, v4, v5, s6
                                        ; implicit-def: $vgpr4_vgpr5
; %bb.3:
	s_andn2_saveexec_b64 s[4:5], s[4:5]
; %bb.4:
	v_mov_b32_e32 v5, 0
	v_or_b32_e32 v6, 0x10000, v4
	v_cmp_eq_u32_sdwa vcc, v4, v5 src0_sel:WORD_0 src1_sel:DWORD
	v_cndmask_b32_e32 v6, v6, v4, vcc
; %bb.5:
	s_or_b64 exec, exec, s[4:5]
	v_lshrrev_b32_e32 v5, 16, v6
	v_mov_b32_e32 v4, v5
.LBB85_6:
	s_or_b64 exec, exec, s[0:1]
	v_cmp_gt_u32_e32 vcc, 30, v1
	s_waitcnt lgkmcnt(0)
	v_cndmask_b32_e64 v6, 0, 1, vcc
	v_lshlrev_b32_e32 v6, 1, v6
	v_add_lshl_u32 v6, v6, v3, 2
	ds_bpermute_b32 v6, v6, v5
	v_add_u32_e32 v7, 2, v1
	v_cmp_gt_u32_e32 vcc, s7, v7
	s_and_saveexec_b64 s[0:1], vcc
	s_cbranch_execz .LBB85_12
; %bb.7:
	s_waitcnt lgkmcnt(0)
	v_lshlrev_b32_e32 v4, 16, v6
	v_lshlrev_b32_e32 v6, 16, v5
	v_pk_add_f32 v[4:5], v[4:5], v[6:7] op_sel_hi:[0,1]
	s_mov_b32 s4, 0x7f800000
	v_and_b32_e32 v5, 0x7f800000, v4
	v_cmp_ne_u32_e32 vcc, s4, v5
                                        ; implicit-def: $vgpr6
	s_and_saveexec_b64 s[4:5], vcc
	s_xor_b64 s[4:5], exec, s[4:5]
; %bb.8:
	v_bfe_u32 v5, v4, 16, 1
	s_movk_i32 s6, 0x7fff
	v_add3_u32 v6, v4, v5, s6
                                        ; implicit-def: $vgpr4_vgpr5
; %bb.9:
	s_andn2_saveexec_b64 s[4:5], s[4:5]
; %bb.10:
	v_mov_b32_e32 v5, 0
	v_or_b32_e32 v6, 0x10000, v4
	v_cmp_eq_u32_sdwa vcc, v4, v5 src0_sel:WORD_0 src1_sel:DWORD
	v_cndmask_b32_e32 v6, v6, v4, vcc
; %bb.11:
	s_or_b64 exec, exec, s[4:5]
	v_lshrrev_b32_e32 v5, 16, v6
	v_mov_b32_e32 v4, v5
.LBB85_12:
	s_or_b64 exec, exec, s[0:1]
	v_cmp_gt_u32_e32 vcc, 28, v1
	s_waitcnt lgkmcnt(0)
	v_cndmask_b32_e64 v6, 0, 1, vcc
	v_lshlrev_b32_e32 v6, 2, v6
	v_add_lshl_u32 v6, v6, v3, 2
	ds_bpermute_b32 v6, v6, v5
	v_add_u32_e32 v7, 4, v1
	v_cmp_gt_u32_e32 vcc, s7, v7
	;; [unrolled: 39-line block ×4, first 2 shown]
	s_and_saveexec_b64 s[0:1], vcc
	s_cbranch_execz .LBB85_30
; %bb.25:
	s_waitcnt lgkmcnt(0)
	v_lshlrev_b32_e32 v4, 16, v3
	v_lshlrev_b32_e32 v6, 16, v5
	v_pk_add_f32 v[4:5], v[4:5], v[6:7] op_sel_hi:[0,1]
	s_mov_b32 s4, 0x7f800000
	v_and_b32_e32 v1, 0x7f800000, v4
	v_cmp_ne_u32_e32 vcc, s4, v1
                                        ; implicit-def: $vgpr1
	s_and_saveexec_b64 s[4:5], vcc
	s_xor_b64 s[4:5], exec, s[4:5]
; %bb.26:
	v_bfe_u32 v1, v4, 16, 1
	s_movk_i32 s6, 0x7fff
	v_add3_u32 v1, v4, v1, s6
                                        ; implicit-def: $vgpr4_vgpr5
; %bb.27:
	s_andn2_saveexec_b64 s[4:5], s[4:5]
; %bb.28:
	v_mov_b32_e32 v1, 0
	v_or_b32_e32 v3, 0x10000, v4
	v_cmp_eq_u32_sdwa vcc, v4, v1 src0_sel:WORD_0 src1_sel:DWORD
	v_cndmask_b32_e32 v1, v3, v4, vcc
; %bb.29:
	s_or_b64 exec, exec, s[4:5]
	v_lshrrev_b32_e32 v4, 16, v1
.LBB85_30:
	s_or_b64 exec, exec, s[0:1]
	v_and_b32_e32 v0, 31, v0
	v_cmp_eq_u32_e32 vcc, 0, v0
	s_and_saveexec_b64 s[0:1], vcc
	s_cbranch_execz .LBB85_32
; %bb.31:
	v_lshrrev_b32_e32 v0, 4, v2
	v_and_b32_e32 v0, 0xffffffe, v0
	global_store_short v0, v4, s[2:3]
.LBB85_32:
	s_endpgm
	.section	.rodata,"a",@progbits
	.p2align	6, 0x0
	.amdhsa_kernel _Z24warp_reduce_valid_kernelI12hip_bfloat16Lj128ELj32EENSt9enable_ifIXsr10test_utilsE35device_test_enabled_for_warp_size_vIXT1_EEEvE4typeEPT_S5_i
		.amdhsa_group_segment_fixed_size 0
		.amdhsa_private_segment_fixed_size 0
		.amdhsa_kernarg_size 280
		.amdhsa_user_sgpr_count 6
		.amdhsa_user_sgpr_private_segment_buffer 1
		.amdhsa_user_sgpr_dispatch_ptr 0
		.amdhsa_user_sgpr_queue_ptr 0
		.amdhsa_user_sgpr_kernarg_segment_ptr 1
		.amdhsa_user_sgpr_dispatch_id 0
		.amdhsa_user_sgpr_flat_scratch_init 0
		.amdhsa_user_sgpr_kernarg_preload_length 0
		.amdhsa_user_sgpr_kernarg_preload_offset 0
		.amdhsa_user_sgpr_private_segment_size 0
		.amdhsa_uses_dynamic_stack 0
		.amdhsa_system_sgpr_private_segment_wavefront_offset 0
		.amdhsa_system_sgpr_workgroup_id_x 1
		.amdhsa_system_sgpr_workgroup_id_y 0
		.amdhsa_system_sgpr_workgroup_id_z 0
		.amdhsa_system_sgpr_workgroup_info 0
		.amdhsa_system_vgpr_workitem_id 0
		.amdhsa_next_free_vgpr 8
		.amdhsa_next_free_sgpr 9
		.amdhsa_accum_offset 8
		.amdhsa_reserve_vcc 1
		.amdhsa_reserve_flat_scratch 0
		.amdhsa_float_round_mode_32 0
		.amdhsa_float_round_mode_16_64 0
		.amdhsa_float_denorm_mode_32 3
		.amdhsa_float_denorm_mode_16_64 3
		.amdhsa_dx10_clamp 1
		.amdhsa_ieee_mode 1
		.amdhsa_fp16_overflow 0
		.amdhsa_tg_split 0
		.amdhsa_exception_fp_ieee_invalid_op 0
		.amdhsa_exception_fp_denorm_src 0
		.amdhsa_exception_fp_ieee_div_zero 0
		.amdhsa_exception_fp_ieee_overflow 0
		.amdhsa_exception_fp_ieee_underflow 0
		.amdhsa_exception_fp_ieee_inexact 0
		.amdhsa_exception_int_div_zero 0
	.end_amdhsa_kernel
	.section	.text._Z24warp_reduce_valid_kernelI12hip_bfloat16Lj128ELj32EENSt9enable_ifIXsr10test_utilsE35device_test_enabled_for_warp_size_vIXT1_EEEvE4typeEPT_S5_i,"axG",@progbits,_Z24warp_reduce_valid_kernelI12hip_bfloat16Lj128ELj32EENSt9enable_ifIXsr10test_utilsE35device_test_enabled_for_warp_size_vIXT1_EEEvE4typeEPT_S5_i,comdat
.Lfunc_end85:
	.size	_Z24warp_reduce_valid_kernelI12hip_bfloat16Lj128ELj32EENSt9enable_ifIXsr10test_utilsE35device_test_enabled_for_warp_size_vIXT1_EEEvE4typeEPT_S5_i, .Lfunc_end85-_Z24warp_reduce_valid_kernelI12hip_bfloat16Lj128ELj32EENSt9enable_ifIXsr10test_utilsE35device_test_enabled_for_warp_size_vIXT1_EEEvE4typeEPT_S5_i
                                        ; -- End function
	.section	.AMDGPU.csdata,"",@progbits
; Kernel info:
; codeLenInByte = 948
; NumSgprs: 13
; NumVgprs: 8
; NumAgprs: 0
; TotalNumVgprs: 8
; ScratchSize: 0
; MemoryBound: 0
; FloatMode: 240
; IeeeMode: 1
; LDSByteSize: 0 bytes/workgroup (compile time only)
; SGPRBlocks: 1
; VGPRBlocks: 0
; NumSGPRsForWavesPerEU: 13
; NumVGPRsForWavesPerEU: 8
; AccumOffset: 8
; Occupancy: 8
; WaveLimiterHint : 0
; COMPUTE_PGM_RSRC2:SCRATCH_EN: 0
; COMPUTE_PGM_RSRC2:USER_SGPR: 6
; COMPUTE_PGM_RSRC2:TRAP_HANDLER: 0
; COMPUTE_PGM_RSRC2:TGID_X_EN: 1
; COMPUTE_PGM_RSRC2:TGID_Y_EN: 0
; COMPUTE_PGM_RSRC2:TGID_Z_EN: 0
; COMPUTE_PGM_RSRC2:TIDIG_COMP_CNT: 0
; COMPUTE_PGM_RSRC3_GFX90A:ACCUM_OFFSET: 1
; COMPUTE_PGM_RSRC3_GFX90A:TG_SPLIT: 0
	.section	.text._Z24warp_reduce_valid_kernelI12hip_bfloat16Lj64ELj16EENSt9enable_ifIXsr10test_utilsE35device_test_enabled_for_warp_size_vIXT1_EEEvE4typeEPT_S5_i,"axG",@progbits,_Z24warp_reduce_valid_kernelI12hip_bfloat16Lj64ELj16EENSt9enable_ifIXsr10test_utilsE35device_test_enabled_for_warp_size_vIXT1_EEEvE4typeEPT_S5_i,comdat
	.protected	_Z24warp_reduce_valid_kernelI12hip_bfloat16Lj64ELj16EENSt9enable_ifIXsr10test_utilsE35device_test_enabled_for_warp_size_vIXT1_EEEvE4typeEPT_S5_i ; -- Begin function _Z24warp_reduce_valid_kernelI12hip_bfloat16Lj64ELj16EENSt9enable_ifIXsr10test_utilsE35device_test_enabled_for_warp_size_vIXT1_EEEvE4typeEPT_S5_i
	.globl	_Z24warp_reduce_valid_kernelI12hip_bfloat16Lj64ELj16EENSt9enable_ifIXsr10test_utilsE35device_test_enabled_for_warp_size_vIXT1_EEEvE4typeEPT_S5_i
	.p2align	8
	.type	_Z24warp_reduce_valid_kernelI12hip_bfloat16Lj64ELj16EENSt9enable_ifIXsr10test_utilsE35device_test_enabled_for_warp_size_vIXT1_EEEvE4typeEPT_S5_i,@function
_Z24warp_reduce_valid_kernelI12hip_bfloat16Lj64ELj16EENSt9enable_ifIXsr10test_utilsE35device_test_enabled_for_warp_size_vIXT1_EEEvE4typeEPT_S5_i: ; @_Z24warp_reduce_valid_kernelI12hip_bfloat16Lj64ELj16EENSt9enable_ifIXsr10test_utilsE35device_test_enabled_for_warp_size_vIXT1_EEEvE4typeEPT_S5_i
; %bb.0:
	s_load_dword s8, s[4:5], 0x24
	s_load_dwordx4 s[0:3], s[4:5], 0x0
	s_load_dword s7, s[4:5], 0x10
	v_mov_b32_e32 v3, 0
	s_waitcnt lgkmcnt(0)
	s_and_b32 s4, s8, 0xffff
	s_mul_i32 s6, s6, s4
	v_add_u32_e32 v2, s6, v0
	v_lshlrev_b64 v[4:5], 1, v[2:3]
	v_mov_b32_e32 v1, s1
	v_add_co_u32_e32 v4, vcc, s0, v4
	v_addc_co_u32_e32 v5, vcc, v1, v5, vcc
	global_load_ushort v4, v[4:5], off
	v_mbcnt_lo_u32_b32 v1, -1, 0
	v_mbcnt_hi_u32_b32 v3, -1, v1
	v_and_b32_e32 v1, 15, v3
	v_cmp_ne_u32_e32 vcc, 15, v1
	v_addc_co_u32_e32 v6, vcc, 0, v3, vcc
	v_lshlrev_b32_e32 v6, 2, v6
	v_add_u32_e32 v7, 1, v1
	v_cmp_gt_u32_e32 vcc, s7, v7
	s_waitcnt vmcnt(0)
	v_and_b32_e32 v5, 0xffff, v4
	ds_bpermute_b32 v6, v6, v5
	s_and_saveexec_b64 s[0:1], vcc
	s_cbranch_execz .LBB86_6
; %bb.1:
	s_waitcnt lgkmcnt(0)
	v_lshlrev_b32_e32 v4, 16, v6
	v_lshlrev_b32_e32 v6, 16, v5
	v_pk_add_f32 v[4:5], v[4:5], v[6:7] op_sel_hi:[0,1]
	s_mov_b32 s4, 0x7f800000
	v_and_b32_e32 v5, 0x7f800000, v4
	v_cmp_ne_u32_e32 vcc, s4, v5
                                        ; implicit-def: $vgpr6
	s_and_saveexec_b64 s[4:5], vcc
	s_xor_b64 s[4:5], exec, s[4:5]
; %bb.2:
	v_bfe_u32 v5, v4, 16, 1
	s_movk_i32 s6, 0x7fff
	v_add3_u32 v6, v4, v5, s6
                                        ; implicit-def: $vgpr4_vgpr5
; %bb.3:
	s_andn2_saveexec_b64 s[4:5], s[4:5]
; %bb.4:
	v_mov_b32_e32 v5, 0
	v_or_b32_e32 v6, 0x10000, v4
	v_cmp_eq_u32_sdwa vcc, v4, v5 src0_sel:WORD_0 src1_sel:DWORD
	v_cndmask_b32_e32 v6, v6, v4, vcc
; %bb.5:
	s_or_b64 exec, exec, s[4:5]
	v_lshrrev_b32_e32 v5, 16, v6
	v_mov_b32_e32 v4, v5
.LBB86_6:
	s_or_b64 exec, exec, s[0:1]
	v_cmp_gt_u32_e32 vcc, 14, v1
	s_waitcnt lgkmcnt(0)
	v_cndmask_b32_e64 v6, 0, 1, vcc
	v_lshlrev_b32_e32 v6, 1, v6
	v_add_lshl_u32 v6, v6, v3, 2
	ds_bpermute_b32 v6, v6, v5
	v_add_u32_e32 v7, 2, v1
	v_cmp_gt_u32_e32 vcc, s7, v7
	s_and_saveexec_b64 s[0:1], vcc
	s_cbranch_execz .LBB86_12
; %bb.7:
	s_waitcnt lgkmcnt(0)
	v_lshlrev_b32_e32 v4, 16, v6
	v_lshlrev_b32_e32 v6, 16, v5
	v_pk_add_f32 v[4:5], v[4:5], v[6:7] op_sel_hi:[0,1]
	s_mov_b32 s4, 0x7f800000
	v_and_b32_e32 v5, 0x7f800000, v4
	v_cmp_ne_u32_e32 vcc, s4, v5
                                        ; implicit-def: $vgpr6
	s_and_saveexec_b64 s[4:5], vcc
	s_xor_b64 s[4:5], exec, s[4:5]
; %bb.8:
	v_bfe_u32 v5, v4, 16, 1
	s_movk_i32 s6, 0x7fff
	v_add3_u32 v6, v4, v5, s6
                                        ; implicit-def: $vgpr4_vgpr5
; %bb.9:
	s_andn2_saveexec_b64 s[4:5], s[4:5]
; %bb.10:
	v_mov_b32_e32 v5, 0
	v_or_b32_e32 v6, 0x10000, v4
	v_cmp_eq_u32_sdwa vcc, v4, v5 src0_sel:WORD_0 src1_sel:DWORD
	v_cndmask_b32_e32 v6, v6, v4, vcc
; %bb.11:
	s_or_b64 exec, exec, s[4:5]
	v_lshrrev_b32_e32 v5, 16, v6
	v_mov_b32_e32 v4, v5
.LBB86_12:
	s_or_b64 exec, exec, s[0:1]
	v_cmp_gt_u32_e32 vcc, 12, v1
	s_waitcnt lgkmcnt(0)
	v_cndmask_b32_e64 v6, 0, 1, vcc
	v_lshlrev_b32_e32 v6, 2, v6
	v_add_lshl_u32 v6, v6, v3, 2
	ds_bpermute_b32 v6, v6, v5
	v_add_u32_e32 v7, 4, v1
	v_cmp_gt_u32_e32 vcc, s7, v7
	;; [unrolled: 39-line block ×3, first 2 shown]
	s_and_saveexec_b64 s[0:1], vcc
	s_cbranch_execz .LBB86_24
; %bb.19:
	s_waitcnt lgkmcnt(0)
	v_lshlrev_b32_e32 v4, 16, v3
	v_lshlrev_b32_e32 v6, 16, v5
	v_pk_add_f32 v[4:5], v[4:5], v[6:7] op_sel_hi:[0,1]
	s_mov_b32 s4, 0x7f800000
	v_and_b32_e32 v1, 0x7f800000, v4
	v_cmp_ne_u32_e32 vcc, s4, v1
                                        ; implicit-def: $vgpr1
	s_and_saveexec_b64 s[4:5], vcc
	s_xor_b64 s[4:5], exec, s[4:5]
; %bb.20:
	v_bfe_u32 v1, v4, 16, 1
	s_movk_i32 s6, 0x7fff
	v_add3_u32 v1, v4, v1, s6
                                        ; implicit-def: $vgpr4_vgpr5
; %bb.21:
	s_andn2_saveexec_b64 s[4:5], s[4:5]
; %bb.22:
	v_mov_b32_e32 v1, 0
	v_or_b32_e32 v3, 0x10000, v4
	v_cmp_eq_u32_sdwa vcc, v4, v1 src0_sel:WORD_0 src1_sel:DWORD
	v_cndmask_b32_e32 v1, v3, v4, vcc
; %bb.23:
	s_or_b64 exec, exec, s[4:5]
	v_lshrrev_b32_e32 v4, 16, v1
.LBB86_24:
	s_or_b64 exec, exec, s[0:1]
	v_and_b32_e32 v0, 15, v0
	v_cmp_eq_u32_e32 vcc, 0, v0
	s_and_saveexec_b64 s[0:1], vcc
	s_cbranch_execz .LBB86_26
; %bb.25:
	v_lshrrev_b32_e32 v0, 3, v2
	v_and_b32_e32 v0, 0x1ffffffe, v0
	global_store_short v0, v4, s[2:3]
.LBB86_26:
	s_endpgm
	.section	.rodata,"a",@progbits
	.p2align	6, 0x0
	.amdhsa_kernel _Z24warp_reduce_valid_kernelI12hip_bfloat16Lj64ELj16EENSt9enable_ifIXsr10test_utilsE35device_test_enabled_for_warp_size_vIXT1_EEEvE4typeEPT_S5_i
		.amdhsa_group_segment_fixed_size 0
		.amdhsa_private_segment_fixed_size 0
		.amdhsa_kernarg_size 280
		.amdhsa_user_sgpr_count 6
		.amdhsa_user_sgpr_private_segment_buffer 1
		.amdhsa_user_sgpr_dispatch_ptr 0
		.amdhsa_user_sgpr_queue_ptr 0
		.amdhsa_user_sgpr_kernarg_segment_ptr 1
		.amdhsa_user_sgpr_dispatch_id 0
		.amdhsa_user_sgpr_flat_scratch_init 0
		.amdhsa_user_sgpr_kernarg_preload_length 0
		.amdhsa_user_sgpr_kernarg_preload_offset 0
		.amdhsa_user_sgpr_private_segment_size 0
		.amdhsa_uses_dynamic_stack 0
		.amdhsa_system_sgpr_private_segment_wavefront_offset 0
		.amdhsa_system_sgpr_workgroup_id_x 1
		.amdhsa_system_sgpr_workgroup_id_y 0
		.amdhsa_system_sgpr_workgroup_id_z 0
		.amdhsa_system_sgpr_workgroup_info 0
		.amdhsa_system_vgpr_workitem_id 0
		.amdhsa_next_free_vgpr 8
		.amdhsa_next_free_sgpr 9
		.amdhsa_accum_offset 8
		.amdhsa_reserve_vcc 1
		.amdhsa_reserve_flat_scratch 0
		.amdhsa_float_round_mode_32 0
		.amdhsa_float_round_mode_16_64 0
		.amdhsa_float_denorm_mode_32 3
		.amdhsa_float_denorm_mode_16_64 3
		.amdhsa_dx10_clamp 1
		.amdhsa_ieee_mode 1
		.amdhsa_fp16_overflow 0
		.amdhsa_tg_split 0
		.amdhsa_exception_fp_ieee_invalid_op 0
		.amdhsa_exception_fp_denorm_src 0
		.amdhsa_exception_fp_ieee_div_zero 0
		.amdhsa_exception_fp_ieee_overflow 0
		.amdhsa_exception_fp_ieee_underflow 0
		.amdhsa_exception_fp_ieee_inexact 0
		.amdhsa_exception_int_div_zero 0
	.end_amdhsa_kernel
	.section	.text._Z24warp_reduce_valid_kernelI12hip_bfloat16Lj64ELj16EENSt9enable_ifIXsr10test_utilsE35device_test_enabled_for_warp_size_vIXT1_EEEvE4typeEPT_S5_i,"axG",@progbits,_Z24warp_reduce_valid_kernelI12hip_bfloat16Lj64ELj16EENSt9enable_ifIXsr10test_utilsE35device_test_enabled_for_warp_size_vIXT1_EEEvE4typeEPT_S5_i,comdat
.Lfunc_end86:
	.size	_Z24warp_reduce_valid_kernelI12hip_bfloat16Lj64ELj16EENSt9enable_ifIXsr10test_utilsE35device_test_enabled_for_warp_size_vIXT1_EEEvE4typeEPT_S5_i, .Lfunc_end86-_Z24warp_reduce_valid_kernelI12hip_bfloat16Lj64ELj16EENSt9enable_ifIXsr10test_utilsE35device_test_enabled_for_warp_size_vIXT1_EEEvE4typeEPT_S5_i
                                        ; -- End function
	.section	.AMDGPU.csdata,"",@progbits
; Kernel info:
; codeLenInByte = 784
; NumSgprs: 13
; NumVgprs: 8
; NumAgprs: 0
; TotalNumVgprs: 8
; ScratchSize: 0
; MemoryBound: 0
; FloatMode: 240
; IeeeMode: 1
; LDSByteSize: 0 bytes/workgroup (compile time only)
; SGPRBlocks: 1
; VGPRBlocks: 0
; NumSGPRsForWavesPerEU: 13
; NumVGPRsForWavesPerEU: 8
; AccumOffset: 8
; Occupancy: 8
; WaveLimiterHint : 0
; COMPUTE_PGM_RSRC2:SCRATCH_EN: 0
; COMPUTE_PGM_RSRC2:USER_SGPR: 6
; COMPUTE_PGM_RSRC2:TRAP_HANDLER: 0
; COMPUTE_PGM_RSRC2:TGID_X_EN: 1
; COMPUTE_PGM_RSRC2:TGID_Y_EN: 0
; COMPUTE_PGM_RSRC2:TGID_Z_EN: 0
; COMPUTE_PGM_RSRC2:TIDIG_COMP_CNT: 0
; COMPUTE_PGM_RSRC3_GFX90A:ACCUM_OFFSET: 1
; COMPUTE_PGM_RSRC3_GFX90A:TG_SPLIT: 0
	.section	.text._Z24warp_reduce_valid_kernelI12hip_bfloat16Lj32ELj8EENSt9enable_ifIXsr10test_utilsE35device_test_enabled_for_warp_size_vIXT1_EEEvE4typeEPT_S5_i,"axG",@progbits,_Z24warp_reduce_valid_kernelI12hip_bfloat16Lj32ELj8EENSt9enable_ifIXsr10test_utilsE35device_test_enabled_for_warp_size_vIXT1_EEEvE4typeEPT_S5_i,comdat
	.protected	_Z24warp_reduce_valid_kernelI12hip_bfloat16Lj32ELj8EENSt9enable_ifIXsr10test_utilsE35device_test_enabled_for_warp_size_vIXT1_EEEvE4typeEPT_S5_i ; -- Begin function _Z24warp_reduce_valid_kernelI12hip_bfloat16Lj32ELj8EENSt9enable_ifIXsr10test_utilsE35device_test_enabled_for_warp_size_vIXT1_EEEvE4typeEPT_S5_i
	.globl	_Z24warp_reduce_valid_kernelI12hip_bfloat16Lj32ELj8EENSt9enable_ifIXsr10test_utilsE35device_test_enabled_for_warp_size_vIXT1_EEEvE4typeEPT_S5_i
	.p2align	8
	.type	_Z24warp_reduce_valid_kernelI12hip_bfloat16Lj32ELj8EENSt9enable_ifIXsr10test_utilsE35device_test_enabled_for_warp_size_vIXT1_EEEvE4typeEPT_S5_i,@function
_Z24warp_reduce_valid_kernelI12hip_bfloat16Lj32ELj8EENSt9enable_ifIXsr10test_utilsE35device_test_enabled_for_warp_size_vIXT1_EEEvE4typeEPT_S5_i: ; @_Z24warp_reduce_valid_kernelI12hip_bfloat16Lj32ELj8EENSt9enable_ifIXsr10test_utilsE35device_test_enabled_for_warp_size_vIXT1_EEEvE4typeEPT_S5_i
; %bb.0:
	s_load_dword s8, s[4:5], 0x24
	s_load_dwordx4 s[0:3], s[4:5], 0x0
	s_load_dword s7, s[4:5], 0x10
	v_mov_b32_e32 v3, 0
	s_waitcnt lgkmcnt(0)
	s_and_b32 s4, s8, 0xffff
	s_mul_i32 s6, s6, s4
	v_add_u32_e32 v2, s6, v0
	v_lshlrev_b64 v[4:5], 1, v[2:3]
	v_mov_b32_e32 v1, s1
	v_add_co_u32_e32 v4, vcc, s0, v4
	v_addc_co_u32_e32 v5, vcc, v1, v5, vcc
	global_load_ushort v4, v[4:5], off
	v_mbcnt_lo_u32_b32 v1, -1, 0
	v_mbcnt_hi_u32_b32 v3, -1, v1
	v_and_b32_e32 v1, 7, v3
	v_cmp_ne_u32_e32 vcc, 7, v1
	v_addc_co_u32_e32 v6, vcc, 0, v3, vcc
	v_lshlrev_b32_e32 v6, 2, v6
	v_add_u32_e32 v7, 1, v1
	v_cmp_gt_u32_e32 vcc, s7, v7
	s_waitcnt vmcnt(0)
	v_and_b32_e32 v5, 0xffff, v4
	ds_bpermute_b32 v6, v6, v5
	s_and_saveexec_b64 s[0:1], vcc
	s_cbranch_execz .LBB87_6
; %bb.1:
	s_waitcnt lgkmcnt(0)
	v_lshlrev_b32_e32 v4, 16, v6
	v_lshlrev_b32_e32 v6, 16, v5
	v_pk_add_f32 v[4:5], v[4:5], v[6:7] op_sel_hi:[0,1]
	s_mov_b32 s4, 0x7f800000
	v_and_b32_e32 v5, 0x7f800000, v4
	v_cmp_ne_u32_e32 vcc, s4, v5
                                        ; implicit-def: $vgpr6
	s_and_saveexec_b64 s[4:5], vcc
	s_xor_b64 s[4:5], exec, s[4:5]
; %bb.2:
	v_bfe_u32 v5, v4, 16, 1
	s_movk_i32 s6, 0x7fff
	v_add3_u32 v6, v4, v5, s6
                                        ; implicit-def: $vgpr4_vgpr5
; %bb.3:
	s_andn2_saveexec_b64 s[4:5], s[4:5]
; %bb.4:
	v_mov_b32_e32 v5, 0
	v_or_b32_e32 v6, 0x10000, v4
	v_cmp_eq_u32_sdwa vcc, v4, v5 src0_sel:WORD_0 src1_sel:DWORD
	v_cndmask_b32_e32 v6, v6, v4, vcc
; %bb.5:
	s_or_b64 exec, exec, s[4:5]
	v_lshrrev_b32_e32 v5, 16, v6
	v_mov_b32_e32 v4, v5
.LBB87_6:
	s_or_b64 exec, exec, s[0:1]
	v_cmp_gt_u32_e32 vcc, 6, v1
	s_waitcnt lgkmcnt(0)
	v_cndmask_b32_e64 v6, 0, 1, vcc
	v_lshlrev_b32_e32 v6, 1, v6
	v_add_lshl_u32 v6, v6, v3, 2
	ds_bpermute_b32 v6, v6, v5
	v_add_u32_e32 v7, 2, v1
	v_cmp_gt_u32_e32 vcc, s7, v7
	s_and_saveexec_b64 s[0:1], vcc
	s_cbranch_execz .LBB87_12
; %bb.7:
	s_waitcnt lgkmcnt(0)
	v_lshlrev_b32_e32 v4, 16, v6
	v_lshlrev_b32_e32 v6, 16, v5
	v_pk_add_f32 v[4:5], v[4:5], v[6:7] op_sel_hi:[0,1]
	s_mov_b32 s4, 0x7f800000
	v_and_b32_e32 v5, 0x7f800000, v4
	v_cmp_ne_u32_e32 vcc, s4, v5
                                        ; implicit-def: $vgpr6
	s_and_saveexec_b64 s[4:5], vcc
	s_xor_b64 s[4:5], exec, s[4:5]
; %bb.8:
	v_bfe_u32 v5, v4, 16, 1
	s_movk_i32 s6, 0x7fff
	v_add3_u32 v6, v4, v5, s6
                                        ; implicit-def: $vgpr4_vgpr5
; %bb.9:
	s_andn2_saveexec_b64 s[4:5], s[4:5]
; %bb.10:
	v_mov_b32_e32 v5, 0
	v_or_b32_e32 v6, 0x10000, v4
	v_cmp_eq_u32_sdwa vcc, v4, v5 src0_sel:WORD_0 src1_sel:DWORD
	v_cndmask_b32_e32 v6, v6, v4, vcc
; %bb.11:
	s_or_b64 exec, exec, s[4:5]
	v_lshrrev_b32_e32 v5, 16, v6
	v_mov_b32_e32 v4, v5
.LBB87_12:
	s_or_b64 exec, exec, s[0:1]
	v_cmp_gt_u32_e32 vcc, 4, v1
	s_waitcnt lgkmcnt(0)
	v_cndmask_b32_e64 v6, 0, 1, vcc
	v_lshlrev_b32_e32 v6, 2, v6
	v_add_lshl_u32 v3, v6, v3, 2
	ds_bpermute_b32 v3, v3, v5
	v_add_u32_e32 v1, 4, v1
	v_cmp_gt_u32_e32 vcc, s7, v1
	s_and_saveexec_b64 s[0:1], vcc
	s_cbranch_execz .LBB87_18
; %bb.13:
	s_waitcnt lgkmcnt(0)
	v_lshlrev_b32_e32 v4, 16, v3
	v_lshlrev_b32_e32 v6, 16, v5
	v_pk_add_f32 v[4:5], v[4:5], v[6:7] op_sel_hi:[0,1]
	s_mov_b32 s4, 0x7f800000
	v_and_b32_e32 v1, 0x7f800000, v4
	v_cmp_ne_u32_e32 vcc, s4, v1
                                        ; implicit-def: $vgpr1
	s_and_saveexec_b64 s[4:5], vcc
	s_xor_b64 s[4:5], exec, s[4:5]
; %bb.14:
	v_bfe_u32 v1, v4, 16, 1
	s_movk_i32 s6, 0x7fff
	v_add3_u32 v1, v4, v1, s6
                                        ; implicit-def: $vgpr4_vgpr5
; %bb.15:
	s_andn2_saveexec_b64 s[4:5], s[4:5]
; %bb.16:
	v_mov_b32_e32 v1, 0
	v_or_b32_e32 v3, 0x10000, v4
	v_cmp_eq_u32_sdwa vcc, v4, v1 src0_sel:WORD_0 src1_sel:DWORD
	v_cndmask_b32_e32 v1, v3, v4, vcc
; %bb.17:
	s_or_b64 exec, exec, s[4:5]
	v_lshrrev_b32_e32 v4, 16, v1
.LBB87_18:
	s_or_b64 exec, exec, s[0:1]
	v_and_b32_e32 v0, 7, v0
	v_cmp_eq_u32_e32 vcc, 0, v0
	s_and_saveexec_b64 s[0:1], vcc
	s_cbranch_execz .LBB87_20
; %bb.19:
	v_lshrrev_b32_e32 v0, 2, v2
	v_and_b32_e32 v0, 0x3ffffffe, v0
	global_store_short v0, v4, s[2:3]
.LBB87_20:
	s_endpgm
	.section	.rodata,"a",@progbits
	.p2align	6, 0x0
	.amdhsa_kernel _Z24warp_reduce_valid_kernelI12hip_bfloat16Lj32ELj8EENSt9enable_ifIXsr10test_utilsE35device_test_enabled_for_warp_size_vIXT1_EEEvE4typeEPT_S5_i
		.amdhsa_group_segment_fixed_size 0
		.amdhsa_private_segment_fixed_size 0
		.amdhsa_kernarg_size 280
		.amdhsa_user_sgpr_count 6
		.amdhsa_user_sgpr_private_segment_buffer 1
		.amdhsa_user_sgpr_dispatch_ptr 0
		.amdhsa_user_sgpr_queue_ptr 0
		.amdhsa_user_sgpr_kernarg_segment_ptr 1
		.amdhsa_user_sgpr_dispatch_id 0
		.amdhsa_user_sgpr_flat_scratch_init 0
		.amdhsa_user_sgpr_kernarg_preload_length 0
		.amdhsa_user_sgpr_kernarg_preload_offset 0
		.amdhsa_user_sgpr_private_segment_size 0
		.amdhsa_uses_dynamic_stack 0
		.amdhsa_system_sgpr_private_segment_wavefront_offset 0
		.amdhsa_system_sgpr_workgroup_id_x 1
		.amdhsa_system_sgpr_workgroup_id_y 0
		.amdhsa_system_sgpr_workgroup_id_z 0
		.amdhsa_system_sgpr_workgroup_info 0
		.amdhsa_system_vgpr_workitem_id 0
		.amdhsa_next_free_vgpr 8
		.amdhsa_next_free_sgpr 9
		.amdhsa_accum_offset 8
		.amdhsa_reserve_vcc 1
		.amdhsa_reserve_flat_scratch 0
		.amdhsa_float_round_mode_32 0
		.amdhsa_float_round_mode_16_64 0
		.amdhsa_float_denorm_mode_32 3
		.amdhsa_float_denorm_mode_16_64 3
		.amdhsa_dx10_clamp 1
		.amdhsa_ieee_mode 1
		.amdhsa_fp16_overflow 0
		.amdhsa_tg_split 0
		.amdhsa_exception_fp_ieee_invalid_op 0
		.amdhsa_exception_fp_denorm_src 0
		.amdhsa_exception_fp_ieee_div_zero 0
		.amdhsa_exception_fp_ieee_overflow 0
		.amdhsa_exception_fp_ieee_underflow 0
		.amdhsa_exception_fp_ieee_inexact 0
		.amdhsa_exception_int_div_zero 0
	.end_amdhsa_kernel
	.section	.text._Z24warp_reduce_valid_kernelI12hip_bfloat16Lj32ELj8EENSt9enable_ifIXsr10test_utilsE35device_test_enabled_for_warp_size_vIXT1_EEEvE4typeEPT_S5_i,"axG",@progbits,_Z24warp_reduce_valid_kernelI12hip_bfloat16Lj32ELj8EENSt9enable_ifIXsr10test_utilsE35device_test_enabled_for_warp_size_vIXT1_EEEvE4typeEPT_S5_i,comdat
.Lfunc_end87:
	.size	_Z24warp_reduce_valid_kernelI12hip_bfloat16Lj32ELj8EENSt9enable_ifIXsr10test_utilsE35device_test_enabled_for_warp_size_vIXT1_EEEvE4typeEPT_S5_i, .Lfunc_end87-_Z24warp_reduce_valid_kernelI12hip_bfloat16Lj32ELj8EENSt9enable_ifIXsr10test_utilsE35device_test_enabled_for_warp_size_vIXT1_EEEvE4typeEPT_S5_i
                                        ; -- End function
	.section	.AMDGPU.csdata,"",@progbits
; Kernel info:
; codeLenInByte = 620
; NumSgprs: 13
; NumVgprs: 8
; NumAgprs: 0
; TotalNumVgprs: 8
; ScratchSize: 0
; MemoryBound: 0
; FloatMode: 240
; IeeeMode: 1
; LDSByteSize: 0 bytes/workgroup (compile time only)
; SGPRBlocks: 1
; VGPRBlocks: 0
; NumSGPRsForWavesPerEU: 13
; NumVGPRsForWavesPerEU: 8
; AccumOffset: 8
; Occupancy: 8
; WaveLimiterHint : 0
; COMPUTE_PGM_RSRC2:SCRATCH_EN: 0
; COMPUTE_PGM_RSRC2:USER_SGPR: 6
; COMPUTE_PGM_RSRC2:TRAP_HANDLER: 0
; COMPUTE_PGM_RSRC2:TGID_X_EN: 1
; COMPUTE_PGM_RSRC2:TGID_Y_EN: 0
; COMPUTE_PGM_RSRC2:TGID_Z_EN: 0
; COMPUTE_PGM_RSRC2:TIDIG_COMP_CNT: 0
; COMPUTE_PGM_RSRC3_GFX90A:ACCUM_OFFSET: 1
; COMPUTE_PGM_RSRC3_GFX90A:TG_SPLIT: 0
	.section	.text._Z24warp_reduce_valid_kernelI12hip_bfloat16Lj64ELj8EENSt9enable_ifIXsr10test_utilsE35device_test_enabled_for_warp_size_vIXT1_EEEvE4typeEPT_S5_i,"axG",@progbits,_Z24warp_reduce_valid_kernelI12hip_bfloat16Lj64ELj8EENSt9enable_ifIXsr10test_utilsE35device_test_enabled_for_warp_size_vIXT1_EEEvE4typeEPT_S5_i,comdat
	.protected	_Z24warp_reduce_valid_kernelI12hip_bfloat16Lj64ELj8EENSt9enable_ifIXsr10test_utilsE35device_test_enabled_for_warp_size_vIXT1_EEEvE4typeEPT_S5_i ; -- Begin function _Z24warp_reduce_valid_kernelI12hip_bfloat16Lj64ELj8EENSt9enable_ifIXsr10test_utilsE35device_test_enabled_for_warp_size_vIXT1_EEEvE4typeEPT_S5_i
	.globl	_Z24warp_reduce_valid_kernelI12hip_bfloat16Lj64ELj8EENSt9enable_ifIXsr10test_utilsE35device_test_enabled_for_warp_size_vIXT1_EEEvE4typeEPT_S5_i
	.p2align	8
	.type	_Z24warp_reduce_valid_kernelI12hip_bfloat16Lj64ELj8EENSt9enable_ifIXsr10test_utilsE35device_test_enabled_for_warp_size_vIXT1_EEEvE4typeEPT_S5_i,@function
_Z24warp_reduce_valid_kernelI12hip_bfloat16Lj64ELj8EENSt9enable_ifIXsr10test_utilsE35device_test_enabled_for_warp_size_vIXT1_EEEvE4typeEPT_S5_i: ; @_Z24warp_reduce_valid_kernelI12hip_bfloat16Lj64ELj8EENSt9enable_ifIXsr10test_utilsE35device_test_enabled_for_warp_size_vIXT1_EEEvE4typeEPT_S5_i
; %bb.0:
	s_load_dword s8, s[4:5], 0x24
	s_load_dwordx4 s[0:3], s[4:5], 0x0
	s_load_dword s7, s[4:5], 0x10
	v_mov_b32_e32 v3, 0
	s_waitcnt lgkmcnt(0)
	s_and_b32 s4, s8, 0xffff
	s_mul_i32 s6, s6, s4
	v_add_u32_e32 v2, s6, v0
	v_lshlrev_b64 v[4:5], 1, v[2:3]
	v_mov_b32_e32 v1, s1
	v_add_co_u32_e32 v4, vcc, s0, v4
	v_addc_co_u32_e32 v5, vcc, v1, v5, vcc
	global_load_ushort v4, v[4:5], off
	v_mbcnt_lo_u32_b32 v1, -1, 0
	v_mbcnt_hi_u32_b32 v3, -1, v1
	v_and_b32_e32 v1, 7, v3
	v_cmp_ne_u32_e32 vcc, 7, v1
	v_addc_co_u32_e32 v6, vcc, 0, v3, vcc
	v_lshlrev_b32_e32 v6, 2, v6
	v_add_u32_e32 v7, 1, v1
	v_cmp_gt_u32_e32 vcc, s7, v7
	s_waitcnt vmcnt(0)
	v_and_b32_e32 v5, 0xffff, v4
	ds_bpermute_b32 v6, v6, v5
	s_and_saveexec_b64 s[0:1], vcc
	s_cbranch_execz .LBB88_6
; %bb.1:
	s_waitcnt lgkmcnt(0)
	v_lshlrev_b32_e32 v4, 16, v6
	v_lshlrev_b32_e32 v6, 16, v5
	v_pk_add_f32 v[4:5], v[4:5], v[6:7] op_sel_hi:[0,1]
	s_mov_b32 s4, 0x7f800000
	v_and_b32_e32 v5, 0x7f800000, v4
	v_cmp_ne_u32_e32 vcc, s4, v5
                                        ; implicit-def: $vgpr6
	s_and_saveexec_b64 s[4:5], vcc
	s_xor_b64 s[4:5], exec, s[4:5]
; %bb.2:
	v_bfe_u32 v5, v4, 16, 1
	s_movk_i32 s6, 0x7fff
	v_add3_u32 v6, v4, v5, s6
                                        ; implicit-def: $vgpr4_vgpr5
; %bb.3:
	s_andn2_saveexec_b64 s[4:5], s[4:5]
; %bb.4:
	v_mov_b32_e32 v5, 0
	v_or_b32_e32 v6, 0x10000, v4
	v_cmp_eq_u32_sdwa vcc, v4, v5 src0_sel:WORD_0 src1_sel:DWORD
	v_cndmask_b32_e32 v6, v6, v4, vcc
; %bb.5:
	s_or_b64 exec, exec, s[4:5]
	v_lshrrev_b32_e32 v5, 16, v6
	v_mov_b32_e32 v4, v5
.LBB88_6:
	s_or_b64 exec, exec, s[0:1]
	v_cmp_gt_u32_e32 vcc, 6, v1
	s_waitcnt lgkmcnt(0)
	v_cndmask_b32_e64 v6, 0, 1, vcc
	v_lshlrev_b32_e32 v6, 1, v6
	v_add_lshl_u32 v6, v6, v3, 2
	ds_bpermute_b32 v6, v6, v5
	v_add_u32_e32 v7, 2, v1
	v_cmp_gt_u32_e32 vcc, s7, v7
	s_and_saveexec_b64 s[0:1], vcc
	s_cbranch_execz .LBB88_12
; %bb.7:
	s_waitcnt lgkmcnt(0)
	v_lshlrev_b32_e32 v4, 16, v6
	v_lshlrev_b32_e32 v6, 16, v5
	v_pk_add_f32 v[4:5], v[4:5], v[6:7] op_sel_hi:[0,1]
	s_mov_b32 s4, 0x7f800000
	v_and_b32_e32 v5, 0x7f800000, v4
	v_cmp_ne_u32_e32 vcc, s4, v5
                                        ; implicit-def: $vgpr6
	s_and_saveexec_b64 s[4:5], vcc
	s_xor_b64 s[4:5], exec, s[4:5]
; %bb.8:
	v_bfe_u32 v5, v4, 16, 1
	s_movk_i32 s6, 0x7fff
	v_add3_u32 v6, v4, v5, s6
                                        ; implicit-def: $vgpr4_vgpr5
; %bb.9:
	s_andn2_saveexec_b64 s[4:5], s[4:5]
; %bb.10:
	v_mov_b32_e32 v5, 0
	v_or_b32_e32 v6, 0x10000, v4
	v_cmp_eq_u32_sdwa vcc, v4, v5 src0_sel:WORD_0 src1_sel:DWORD
	v_cndmask_b32_e32 v6, v6, v4, vcc
; %bb.11:
	s_or_b64 exec, exec, s[4:5]
	v_lshrrev_b32_e32 v5, 16, v6
	v_mov_b32_e32 v4, v5
.LBB88_12:
	s_or_b64 exec, exec, s[0:1]
	v_cmp_gt_u32_e32 vcc, 4, v1
	s_waitcnt lgkmcnt(0)
	v_cndmask_b32_e64 v6, 0, 1, vcc
	v_lshlrev_b32_e32 v6, 2, v6
	v_add_lshl_u32 v3, v6, v3, 2
	ds_bpermute_b32 v3, v3, v5
	v_add_u32_e32 v1, 4, v1
	v_cmp_gt_u32_e32 vcc, s7, v1
	s_and_saveexec_b64 s[0:1], vcc
	s_cbranch_execz .LBB88_18
; %bb.13:
	s_waitcnt lgkmcnt(0)
	v_lshlrev_b32_e32 v4, 16, v3
	v_lshlrev_b32_e32 v6, 16, v5
	v_pk_add_f32 v[4:5], v[4:5], v[6:7] op_sel_hi:[0,1]
	s_mov_b32 s4, 0x7f800000
	v_and_b32_e32 v1, 0x7f800000, v4
	v_cmp_ne_u32_e32 vcc, s4, v1
                                        ; implicit-def: $vgpr1
	s_and_saveexec_b64 s[4:5], vcc
	s_xor_b64 s[4:5], exec, s[4:5]
; %bb.14:
	v_bfe_u32 v1, v4, 16, 1
	s_movk_i32 s6, 0x7fff
	v_add3_u32 v1, v4, v1, s6
                                        ; implicit-def: $vgpr4_vgpr5
; %bb.15:
	s_andn2_saveexec_b64 s[4:5], s[4:5]
; %bb.16:
	v_mov_b32_e32 v1, 0
	v_or_b32_e32 v3, 0x10000, v4
	v_cmp_eq_u32_sdwa vcc, v4, v1 src0_sel:WORD_0 src1_sel:DWORD
	v_cndmask_b32_e32 v1, v3, v4, vcc
; %bb.17:
	s_or_b64 exec, exec, s[4:5]
	v_lshrrev_b32_e32 v4, 16, v1
.LBB88_18:
	s_or_b64 exec, exec, s[0:1]
	v_and_b32_e32 v0, 7, v0
	v_cmp_eq_u32_e32 vcc, 0, v0
	s_and_saveexec_b64 s[0:1], vcc
	s_cbranch_execz .LBB88_20
; %bb.19:
	v_lshrrev_b32_e32 v0, 2, v2
	v_and_b32_e32 v0, 0x3ffffffe, v0
	global_store_short v0, v4, s[2:3]
.LBB88_20:
	s_endpgm
	.section	.rodata,"a",@progbits
	.p2align	6, 0x0
	.amdhsa_kernel _Z24warp_reduce_valid_kernelI12hip_bfloat16Lj64ELj8EENSt9enable_ifIXsr10test_utilsE35device_test_enabled_for_warp_size_vIXT1_EEEvE4typeEPT_S5_i
		.amdhsa_group_segment_fixed_size 0
		.amdhsa_private_segment_fixed_size 0
		.amdhsa_kernarg_size 280
		.amdhsa_user_sgpr_count 6
		.amdhsa_user_sgpr_private_segment_buffer 1
		.amdhsa_user_sgpr_dispatch_ptr 0
		.amdhsa_user_sgpr_queue_ptr 0
		.amdhsa_user_sgpr_kernarg_segment_ptr 1
		.amdhsa_user_sgpr_dispatch_id 0
		.amdhsa_user_sgpr_flat_scratch_init 0
		.amdhsa_user_sgpr_kernarg_preload_length 0
		.amdhsa_user_sgpr_kernarg_preload_offset 0
		.amdhsa_user_sgpr_private_segment_size 0
		.amdhsa_uses_dynamic_stack 0
		.amdhsa_system_sgpr_private_segment_wavefront_offset 0
		.amdhsa_system_sgpr_workgroup_id_x 1
		.amdhsa_system_sgpr_workgroup_id_y 0
		.amdhsa_system_sgpr_workgroup_id_z 0
		.amdhsa_system_sgpr_workgroup_info 0
		.amdhsa_system_vgpr_workitem_id 0
		.amdhsa_next_free_vgpr 8
		.amdhsa_next_free_sgpr 9
		.amdhsa_accum_offset 8
		.amdhsa_reserve_vcc 1
		.amdhsa_reserve_flat_scratch 0
		.amdhsa_float_round_mode_32 0
		.amdhsa_float_round_mode_16_64 0
		.amdhsa_float_denorm_mode_32 3
		.amdhsa_float_denorm_mode_16_64 3
		.amdhsa_dx10_clamp 1
		.amdhsa_ieee_mode 1
		.amdhsa_fp16_overflow 0
		.amdhsa_tg_split 0
		.amdhsa_exception_fp_ieee_invalid_op 0
		.amdhsa_exception_fp_denorm_src 0
		.amdhsa_exception_fp_ieee_div_zero 0
		.amdhsa_exception_fp_ieee_overflow 0
		.amdhsa_exception_fp_ieee_underflow 0
		.amdhsa_exception_fp_ieee_inexact 0
		.amdhsa_exception_int_div_zero 0
	.end_amdhsa_kernel
	.section	.text._Z24warp_reduce_valid_kernelI12hip_bfloat16Lj64ELj8EENSt9enable_ifIXsr10test_utilsE35device_test_enabled_for_warp_size_vIXT1_EEEvE4typeEPT_S5_i,"axG",@progbits,_Z24warp_reduce_valid_kernelI12hip_bfloat16Lj64ELj8EENSt9enable_ifIXsr10test_utilsE35device_test_enabled_for_warp_size_vIXT1_EEEvE4typeEPT_S5_i,comdat
.Lfunc_end88:
	.size	_Z24warp_reduce_valid_kernelI12hip_bfloat16Lj64ELj8EENSt9enable_ifIXsr10test_utilsE35device_test_enabled_for_warp_size_vIXT1_EEEvE4typeEPT_S5_i, .Lfunc_end88-_Z24warp_reduce_valid_kernelI12hip_bfloat16Lj64ELj8EENSt9enable_ifIXsr10test_utilsE35device_test_enabled_for_warp_size_vIXT1_EEEvE4typeEPT_S5_i
                                        ; -- End function
	.section	.AMDGPU.csdata,"",@progbits
; Kernel info:
; codeLenInByte = 620
; NumSgprs: 13
; NumVgprs: 8
; NumAgprs: 0
; TotalNumVgprs: 8
; ScratchSize: 0
; MemoryBound: 0
; FloatMode: 240
; IeeeMode: 1
; LDSByteSize: 0 bytes/workgroup (compile time only)
; SGPRBlocks: 1
; VGPRBlocks: 0
; NumSGPRsForWavesPerEU: 13
; NumVGPRsForWavesPerEU: 8
; AccumOffset: 8
; Occupancy: 8
; WaveLimiterHint : 0
; COMPUTE_PGM_RSRC2:SCRATCH_EN: 0
; COMPUTE_PGM_RSRC2:USER_SGPR: 6
; COMPUTE_PGM_RSRC2:TRAP_HANDLER: 0
; COMPUTE_PGM_RSRC2:TGID_X_EN: 1
; COMPUTE_PGM_RSRC2:TGID_Y_EN: 0
; COMPUTE_PGM_RSRC2:TGID_Z_EN: 0
; COMPUTE_PGM_RSRC2:TIDIG_COMP_CNT: 0
; COMPUTE_PGM_RSRC3_GFX90A:ACCUM_OFFSET: 1
; COMPUTE_PGM_RSRC3_GFX90A:TG_SPLIT: 0
	.section	.text._Z24warp_reduce_valid_kernelI12hip_bfloat16Lj32ELj4EENSt9enable_ifIXsr10test_utilsE35device_test_enabled_for_warp_size_vIXT1_EEEvE4typeEPT_S5_i,"axG",@progbits,_Z24warp_reduce_valid_kernelI12hip_bfloat16Lj32ELj4EENSt9enable_ifIXsr10test_utilsE35device_test_enabled_for_warp_size_vIXT1_EEEvE4typeEPT_S5_i,comdat
	.protected	_Z24warp_reduce_valid_kernelI12hip_bfloat16Lj32ELj4EENSt9enable_ifIXsr10test_utilsE35device_test_enabled_for_warp_size_vIXT1_EEEvE4typeEPT_S5_i ; -- Begin function _Z24warp_reduce_valid_kernelI12hip_bfloat16Lj32ELj4EENSt9enable_ifIXsr10test_utilsE35device_test_enabled_for_warp_size_vIXT1_EEEvE4typeEPT_S5_i
	.globl	_Z24warp_reduce_valid_kernelI12hip_bfloat16Lj32ELj4EENSt9enable_ifIXsr10test_utilsE35device_test_enabled_for_warp_size_vIXT1_EEEvE4typeEPT_S5_i
	.p2align	8
	.type	_Z24warp_reduce_valid_kernelI12hip_bfloat16Lj32ELj4EENSt9enable_ifIXsr10test_utilsE35device_test_enabled_for_warp_size_vIXT1_EEEvE4typeEPT_S5_i,@function
_Z24warp_reduce_valid_kernelI12hip_bfloat16Lj32ELj4EENSt9enable_ifIXsr10test_utilsE35device_test_enabled_for_warp_size_vIXT1_EEEvE4typeEPT_S5_i: ; @_Z24warp_reduce_valid_kernelI12hip_bfloat16Lj32ELj4EENSt9enable_ifIXsr10test_utilsE35device_test_enabled_for_warp_size_vIXT1_EEEvE4typeEPT_S5_i
; %bb.0:
	s_load_dword s8, s[4:5], 0x24
	s_load_dwordx4 s[0:3], s[4:5], 0x0
	s_load_dword s7, s[4:5], 0x10
	v_mov_b32_e32 v3, 0
	s_waitcnt lgkmcnt(0)
	s_and_b32 s4, s8, 0xffff
	s_mul_i32 s6, s6, s4
	v_add_u32_e32 v2, s6, v0
	v_lshlrev_b64 v[4:5], 1, v[2:3]
	v_mov_b32_e32 v1, s1
	v_add_co_u32_e32 v4, vcc, s0, v4
	v_addc_co_u32_e32 v5, vcc, v1, v5, vcc
	global_load_ushort v4, v[4:5], off
	v_mbcnt_lo_u32_b32 v1, -1, 0
	v_mbcnt_hi_u32_b32 v3, -1, v1
	v_and_b32_e32 v1, 3, v3
	v_cmp_ne_u32_e32 vcc, 3, v1
	v_addc_co_u32_e32 v6, vcc, 0, v3, vcc
	v_lshlrev_b32_e32 v6, 2, v6
	v_add_u32_e32 v7, 1, v1
	v_cmp_gt_u32_e32 vcc, s7, v7
	s_waitcnt vmcnt(0)
	v_and_b32_e32 v5, 0xffff, v4
	ds_bpermute_b32 v6, v6, v5
	s_and_saveexec_b64 s[0:1], vcc
	s_cbranch_execz .LBB89_6
; %bb.1:
	s_waitcnt lgkmcnt(0)
	v_lshlrev_b32_e32 v4, 16, v6
	v_lshlrev_b32_e32 v6, 16, v5
	v_pk_add_f32 v[4:5], v[4:5], v[6:7] op_sel_hi:[0,1]
	s_mov_b32 s4, 0x7f800000
	v_and_b32_e32 v5, 0x7f800000, v4
	v_cmp_ne_u32_e32 vcc, s4, v5
                                        ; implicit-def: $vgpr6
	s_and_saveexec_b64 s[4:5], vcc
	s_xor_b64 s[4:5], exec, s[4:5]
; %bb.2:
	v_bfe_u32 v5, v4, 16, 1
	s_movk_i32 s6, 0x7fff
	v_add3_u32 v6, v4, v5, s6
                                        ; implicit-def: $vgpr4_vgpr5
; %bb.3:
	s_andn2_saveexec_b64 s[4:5], s[4:5]
; %bb.4:
	v_mov_b32_e32 v5, 0
	v_or_b32_e32 v6, 0x10000, v4
	v_cmp_eq_u32_sdwa vcc, v4, v5 src0_sel:WORD_0 src1_sel:DWORD
	v_cndmask_b32_e32 v6, v6, v4, vcc
; %bb.5:
	s_or_b64 exec, exec, s[4:5]
	v_lshrrev_b32_e32 v5, 16, v6
	v_mov_b32_e32 v4, v5
.LBB89_6:
	s_or_b64 exec, exec, s[0:1]
	v_cmp_gt_u32_e32 vcc, 2, v1
	s_waitcnt lgkmcnt(0)
	v_cndmask_b32_e64 v6, 0, 1, vcc
	v_lshlrev_b32_e32 v6, 1, v6
	v_add_lshl_u32 v3, v6, v3, 2
	ds_bpermute_b32 v3, v3, v5
	v_add_u32_e32 v1, 2, v1
	v_cmp_gt_u32_e32 vcc, s7, v1
	s_and_saveexec_b64 s[0:1], vcc
	s_cbranch_execz .LBB89_12
; %bb.7:
	s_waitcnt lgkmcnt(0)
	v_lshlrev_b32_e32 v4, 16, v3
	v_lshlrev_b32_e32 v6, 16, v5
	v_pk_add_f32 v[4:5], v[4:5], v[6:7] op_sel_hi:[0,1]
	s_mov_b32 s4, 0x7f800000
	v_and_b32_e32 v1, 0x7f800000, v4
	v_cmp_ne_u32_e32 vcc, s4, v1
                                        ; implicit-def: $vgpr1
	s_and_saveexec_b64 s[4:5], vcc
	s_xor_b64 s[4:5], exec, s[4:5]
; %bb.8:
	v_bfe_u32 v1, v4, 16, 1
	s_movk_i32 s6, 0x7fff
	v_add3_u32 v1, v4, v1, s6
                                        ; implicit-def: $vgpr4_vgpr5
; %bb.9:
	s_andn2_saveexec_b64 s[4:5], s[4:5]
; %bb.10:
	v_mov_b32_e32 v1, 0
	v_or_b32_e32 v3, 0x10000, v4
	v_cmp_eq_u32_sdwa vcc, v4, v1 src0_sel:WORD_0 src1_sel:DWORD
	v_cndmask_b32_e32 v1, v3, v4, vcc
; %bb.11:
	s_or_b64 exec, exec, s[4:5]
	v_lshrrev_b32_e32 v4, 16, v1
.LBB89_12:
	s_or_b64 exec, exec, s[0:1]
	v_and_b32_e32 v0, 3, v0
	v_cmp_eq_u32_e32 vcc, 0, v0
	s_and_saveexec_b64 s[0:1], vcc
	s_cbranch_execz .LBB89_14
; %bb.13:
	v_lshrrev_b32_e32 v0, 1, v2
	v_and_b32_e32 v0, 0x7ffffffe, v0
	global_store_short v0, v4, s[2:3]
.LBB89_14:
	s_endpgm
	.section	.rodata,"a",@progbits
	.p2align	6, 0x0
	.amdhsa_kernel _Z24warp_reduce_valid_kernelI12hip_bfloat16Lj32ELj4EENSt9enable_ifIXsr10test_utilsE35device_test_enabled_for_warp_size_vIXT1_EEEvE4typeEPT_S5_i
		.amdhsa_group_segment_fixed_size 0
		.amdhsa_private_segment_fixed_size 0
		.amdhsa_kernarg_size 280
		.amdhsa_user_sgpr_count 6
		.amdhsa_user_sgpr_private_segment_buffer 1
		.amdhsa_user_sgpr_dispatch_ptr 0
		.amdhsa_user_sgpr_queue_ptr 0
		.amdhsa_user_sgpr_kernarg_segment_ptr 1
		.amdhsa_user_sgpr_dispatch_id 0
		.amdhsa_user_sgpr_flat_scratch_init 0
		.amdhsa_user_sgpr_kernarg_preload_length 0
		.amdhsa_user_sgpr_kernarg_preload_offset 0
		.amdhsa_user_sgpr_private_segment_size 0
		.amdhsa_uses_dynamic_stack 0
		.amdhsa_system_sgpr_private_segment_wavefront_offset 0
		.amdhsa_system_sgpr_workgroup_id_x 1
		.amdhsa_system_sgpr_workgroup_id_y 0
		.amdhsa_system_sgpr_workgroup_id_z 0
		.amdhsa_system_sgpr_workgroup_info 0
		.amdhsa_system_vgpr_workitem_id 0
		.amdhsa_next_free_vgpr 8
		.amdhsa_next_free_sgpr 9
		.amdhsa_accum_offset 8
		.amdhsa_reserve_vcc 1
		.amdhsa_reserve_flat_scratch 0
		.amdhsa_float_round_mode_32 0
		.amdhsa_float_round_mode_16_64 0
		.amdhsa_float_denorm_mode_32 3
		.amdhsa_float_denorm_mode_16_64 3
		.amdhsa_dx10_clamp 1
		.amdhsa_ieee_mode 1
		.amdhsa_fp16_overflow 0
		.amdhsa_tg_split 0
		.amdhsa_exception_fp_ieee_invalid_op 0
		.amdhsa_exception_fp_denorm_src 0
		.amdhsa_exception_fp_ieee_div_zero 0
		.amdhsa_exception_fp_ieee_overflow 0
		.amdhsa_exception_fp_ieee_underflow 0
		.amdhsa_exception_fp_ieee_inexact 0
		.amdhsa_exception_int_div_zero 0
	.end_amdhsa_kernel
	.section	.text._Z24warp_reduce_valid_kernelI12hip_bfloat16Lj32ELj4EENSt9enable_ifIXsr10test_utilsE35device_test_enabled_for_warp_size_vIXT1_EEEvE4typeEPT_S5_i,"axG",@progbits,_Z24warp_reduce_valid_kernelI12hip_bfloat16Lj32ELj4EENSt9enable_ifIXsr10test_utilsE35device_test_enabled_for_warp_size_vIXT1_EEEvE4typeEPT_S5_i,comdat
.Lfunc_end89:
	.size	_Z24warp_reduce_valid_kernelI12hip_bfloat16Lj32ELj4EENSt9enable_ifIXsr10test_utilsE35device_test_enabled_for_warp_size_vIXT1_EEEvE4typeEPT_S5_i, .Lfunc_end89-_Z24warp_reduce_valid_kernelI12hip_bfloat16Lj32ELj4EENSt9enable_ifIXsr10test_utilsE35device_test_enabled_for_warp_size_vIXT1_EEEvE4typeEPT_S5_i
                                        ; -- End function
	.section	.AMDGPU.csdata,"",@progbits
; Kernel info:
; codeLenInByte = 456
; NumSgprs: 13
; NumVgprs: 8
; NumAgprs: 0
; TotalNumVgprs: 8
; ScratchSize: 0
; MemoryBound: 0
; FloatMode: 240
; IeeeMode: 1
; LDSByteSize: 0 bytes/workgroup (compile time only)
; SGPRBlocks: 1
; VGPRBlocks: 0
; NumSGPRsForWavesPerEU: 13
; NumVGPRsForWavesPerEU: 8
; AccumOffset: 8
; Occupancy: 8
; WaveLimiterHint : 0
; COMPUTE_PGM_RSRC2:SCRATCH_EN: 0
; COMPUTE_PGM_RSRC2:USER_SGPR: 6
; COMPUTE_PGM_RSRC2:TRAP_HANDLER: 0
; COMPUTE_PGM_RSRC2:TGID_X_EN: 1
; COMPUTE_PGM_RSRC2:TGID_Y_EN: 0
; COMPUTE_PGM_RSRC2:TGID_Z_EN: 0
; COMPUTE_PGM_RSRC2:TIDIG_COMP_CNT: 0
; COMPUTE_PGM_RSRC3_GFX90A:ACCUM_OFFSET: 1
; COMPUTE_PGM_RSRC3_GFX90A:TG_SPLIT: 0
	.section	.text._Z24warp_reduce_valid_kernelI12hip_bfloat16Lj64ELj4EENSt9enable_ifIXsr10test_utilsE35device_test_enabled_for_warp_size_vIXT1_EEEvE4typeEPT_S5_i,"axG",@progbits,_Z24warp_reduce_valid_kernelI12hip_bfloat16Lj64ELj4EENSt9enable_ifIXsr10test_utilsE35device_test_enabled_for_warp_size_vIXT1_EEEvE4typeEPT_S5_i,comdat
	.protected	_Z24warp_reduce_valid_kernelI12hip_bfloat16Lj64ELj4EENSt9enable_ifIXsr10test_utilsE35device_test_enabled_for_warp_size_vIXT1_EEEvE4typeEPT_S5_i ; -- Begin function _Z24warp_reduce_valid_kernelI12hip_bfloat16Lj64ELj4EENSt9enable_ifIXsr10test_utilsE35device_test_enabled_for_warp_size_vIXT1_EEEvE4typeEPT_S5_i
	.globl	_Z24warp_reduce_valid_kernelI12hip_bfloat16Lj64ELj4EENSt9enable_ifIXsr10test_utilsE35device_test_enabled_for_warp_size_vIXT1_EEEvE4typeEPT_S5_i
	.p2align	8
	.type	_Z24warp_reduce_valid_kernelI12hip_bfloat16Lj64ELj4EENSt9enable_ifIXsr10test_utilsE35device_test_enabled_for_warp_size_vIXT1_EEEvE4typeEPT_S5_i,@function
_Z24warp_reduce_valid_kernelI12hip_bfloat16Lj64ELj4EENSt9enable_ifIXsr10test_utilsE35device_test_enabled_for_warp_size_vIXT1_EEEvE4typeEPT_S5_i: ; @_Z24warp_reduce_valid_kernelI12hip_bfloat16Lj64ELj4EENSt9enable_ifIXsr10test_utilsE35device_test_enabled_for_warp_size_vIXT1_EEEvE4typeEPT_S5_i
; %bb.0:
	s_load_dword s8, s[4:5], 0x24
	s_load_dwordx4 s[0:3], s[4:5], 0x0
	s_load_dword s7, s[4:5], 0x10
	v_mov_b32_e32 v3, 0
	s_waitcnt lgkmcnt(0)
	s_and_b32 s4, s8, 0xffff
	s_mul_i32 s6, s6, s4
	v_add_u32_e32 v2, s6, v0
	v_lshlrev_b64 v[4:5], 1, v[2:3]
	v_mov_b32_e32 v1, s1
	v_add_co_u32_e32 v4, vcc, s0, v4
	v_addc_co_u32_e32 v5, vcc, v1, v5, vcc
	global_load_ushort v4, v[4:5], off
	v_mbcnt_lo_u32_b32 v1, -1, 0
	v_mbcnt_hi_u32_b32 v3, -1, v1
	v_and_b32_e32 v1, 3, v3
	v_cmp_ne_u32_e32 vcc, 3, v1
	v_addc_co_u32_e32 v6, vcc, 0, v3, vcc
	v_lshlrev_b32_e32 v6, 2, v6
	v_add_u32_e32 v7, 1, v1
	v_cmp_gt_u32_e32 vcc, s7, v7
	s_waitcnt vmcnt(0)
	v_and_b32_e32 v5, 0xffff, v4
	ds_bpermute_b32 v6, v6, v5
	s_and_saveexec_b64 s[0:1], vcc
	s_cbranch_execz .LBB90_6
; %bb.1:
	s_waitcnt lgkmcnt(0)
	v_lshlrev_b32_e32 v4, 16, v6
	v_lshlrev_b32_e32 v6, 16, v5
	v_pk_add_f32 v[4:5], v[4:5], v[6:7] op_sel_hi:[0,1]
	s_mov_b32 s4, 0x7f800000
	v_and_b32_e32 v5, 0x7f800000, v4
	v_cmp_ne_u32_e32 vcc, s4, v5
                                        ; implicit-def: $vgpr6
	s_and_saveexec_b64 s[4:5], vcc
	s_xor_b64 s[4:5], exec, s[4:5]
; %bb.2:
	v_bfe_u32 v5, v4, 16, 1
	s_movk_i32 s6, 0x7fff
	v_add3_u32 v6, v4, v5, s6
                                        ; implicit-def: $vgpr4_vgpr5
; %bb.3:
	s_andn2_saveexec_b64 s[4:5], s[4:5]
; %bb.4:
	v_mov_b32_e32 v5, 0
	v_or_b32_e32 v6, 0x10000, v4
	v_cmp_eq_u32_sdwa vcc, v4, v5 src0_sel:WORD_0 src1_sel:DWORD
	v_cndmask_b32_e32 v6, v6, v4, vcc
; %bb.5:
	s_or_b64 exec, exec, s[4:5]
	v_lshrrev_b32_e32 v5, 16, v6
	v_mov_b32_e32 v4, v5
.LBB90_6:
	s_or_b64 exec, exec, s[0:1]
	v_cmp_gt_u32_e32 vcc, 2, v1
	s_waitcnt lgkmcnt(0)
	v_cndmask_b32_e64 v6, 0, 1, vcc
	v_lshlrev_b32_e32 v6, 1, v6
	v_add_lshl_u32 v3, v6, v3, 2
	ds_bpermute_b32 v3, v3, v5
	v_add_u32_e32 v1, 2, v1
	v_cmp_gt_u32_e32 vcc, s7, v1
	s_and_saveexec_b64 s[0:1], vcc
	s_cbranch_execz .LBB90_12
; %bb.7:
	s_waitcnt lgkmcnt(0)
	v_lshlrev_b32_e32 v4, 16, v3
	v_lshlrev_b32_e32 v6, 16, v5
	v_pk_add_f32 v[4:5], v[4:5], v[6:7] op_sel_hi:[0,1]
	s_mov_b32 s4, 0x7f800000
	v_and_b32_e32 v1, 0x7f800000, v4
	v_cmp_ne_u32_e32 vcc, s4, v1
                                        ; implicit-def: $vgpr1
	s_and_saveexec_b64 s[4:5], vcc
	s_xor_b64 s[4:5], exec, s[4:5]
; %bb.8:
	v_bfe_u32 v1, v4, 16, 1
	s_movk_i32 s6, 0x7fff
	v_add3_u32 v1, v4, v1, s6
                                        ; implicit-def: $vgpr4_vgpr5
; %bb.9:
	s_andn2_saveexec_b64 s[4:5], s[4:5]
; %bb.10:
	v_mov_b32_e32 v1, 0
	v_or_b32_e32 v3, 0x10000, v4
	v_cmp_eq_u32_sdwa vcc, v4, v1 src0_sel:WORD_0 src1_sel:DWORD
	v_cndmask_b32_e32 v1, v3, v4, vcc
; %bb.11:
	s_or_b64 exec, exec, s[4:5]
	v_lshrrev_b32_e32 v4, 16, v1
.LBB90_12:
	s_or_b64 exec, exec, s[0:1]
	v_and_b32_e32 v0, 3, v0
	v_cmp_eq_u32_e32 vcc, 0, v0
	s_and_saveexec_b64 s[0:1], vcc
	s_cbranch_execz .LBB90_14
; %bb.13:
	v_lshrrev_b32_e32 v0, 1, v2
	v_and_b32_e32 v0, 0x7ffffffe, v0
	global_store_short v0, v4, s[2:3]
.LBB90_14:
	s_endpgm
	.section	.rodata,"a",@progbits
	.p2align	6, 0x0
	.amdhsa_kernel _Z24warp_reduce_valid_kernelI12hip_bfloat16Lj64ELj4EENSt9enable_ifIXsr10test_utilsE35device_test_enabled_for_warp_size_vIXT1_EEEvE4typeEPT_S5_i
		.amdhsa_group_segment_fixed_size 0
		.amdhsa_private_segment_fixed_size 0
		.amdhsa_kernarg_size 280
		.amdhsa_user_sgpr_count 6
		.amdhsa_user_sgpr_private_segment_buffer 1
		.amdhsa_user_sgpr_dispatch_ptr 0
		.amdhsa_user_sgpr_queue_ptr 0
		.amdhsa_user_sgpr_kernarg_segment_ptr 1
		.amdhsa_user_sgpr_dispatch_id 0
		.amdhsa_user_sgpr_flat_scratch_init 0
		.amdhsa_user_sgpr_kernarg_preload_length 0
		.amdhsa_user_sgpr_kernarg_preload_offset 0
		.amdhsa_user_sgpr_private_segment_size 0
		.amdhsa_uses_dynamic_stack 0
		.amdhsa_system_sgpr_private_segment_wavefront_offset 0
		.amdhsa_system_sgpr_workgroup_id_x 1
		.amdhsa_system_sgpr_workgroup_id_y 0
		.amdhsa_system_sgpr_workgroup_id_z 0
		.amdhsa_system_sgpr_workgroup_info 0
		.amdhsa_system_vgpr_workitem_id 0
		.amdhsa_next_free_vgpr 8
		.amdhsa_next_free_sgpr 9
		.amdhsa_accum_offset 8
		.amdhsa_reserve_vcc 1
		.amdhsa_reserve_flat_scratch 0
		.amdhsa_float_round_mode_32 0
		.amdhsa_float_round_mode_16_64 0
		.amdhsa_float_denorm_mode_32 3
		.amdhsa_float_denorm_mode_16_64 3
		.amdhsa_dx10_clamp 1
		.amdhsa_ieee_mode 1
		.amdhsa_fp16_overflow 0
		.amdhsa_tg_split 0
		.amdhsa_exception_fp_ieee_invalid_op 0
		.amdhsa_exception_fp_denorm_src 0
		.amdhsa_exception_fp_ieee_div_zero 0
		.amdhsa_exception_fp_ieee_overflow 0
		.amdhsa_exception_fp_ieee_underflow 0
		.amdhsa_exception_fp_ieee_inexact 0
		.amdhsa_exception_int_div_zero 0
	.end_amdhsa_kernel
	.section	.text._Z24warp_reduce_valid_kernelI12hip_bfloat16Lj64ELj4EENSt9enable_ifIXsr10test_utilsE35device_test_enabled_for_warp_size_vIXT1_EEEvE4typeEPT_S5_i,"axG",@progbits,_Z24warp_reduce_valid_kernelI12hip_bfloat16Lj64ELj4EENSt9enable_ifIXsr10test_utilsE35device_test_enabled_for_warp_size_vIXT1_EEEvE4typeEPT_S5_i,comdat
.Lfunc_end90:
	.size	_Z24warp_reduce_valid_kernelI12hip_bfloat16Lj64ELj4EENSt9enable_ifIXsr10test_utilsE35device_test_enabled_for_warp_size_vIXT1_EEEvE4typeEPT_S5_i, .Lfunc_end90-_Z24warp_reduce_valid_kernelI12hip_bfloat16Lj64ELj4EENSt9enable_ifIXsr10test_utilsE35device_test_enabled_for_warp_size_vIXT1_EEEvE4typeEPT_S5_i
                                        ; -- End function
	.section	.AMDGPU.csdata,"",@progbits
; Kernel info:
; codeLenInByte = 456
; NumSgprs: 13
; NumVgprs: 8
; NumAgprs: 0
; TotalNumVgprs: 8
; ScratchSize: 0
; MemoryBound: 0
; FloatMode: 240
; IeeeMode: 1
; LDSByteSize: 0 bytes/workgroup (compile time only)
; SGPRBlocks: 1
; VGPRBlocks: 0
; NumSGPRsForWavesPerEU: 13
; NumVGPRsForWavesPerEU: 8
; AccumOffset: 8
; Occupancy: 8
; WaveLimiterHint : 0
; COMPUTE_PGM_RSRC2:SCRATCH_EN: 0
; COMPUTE_PGM_RSRC2:USER_SGPR: 6
; COMPUTE_PGM_RSRC2:TRAP_HANDLER: 0
; COMPUTE_PGM_RSRC2:TGID_X_EN: 1
; COMPUTE_PGM_RSRC2:TGID_Y_EN: 0
; COMPUTE_PGM_RSRC2:TGID_Z_EN: 0
; COMPUTE_PGM_RSRC2:TIDIG_COMP_CNT: 0
; COMPUTE_PGM_RSRC3_GFX90A:ACCUM_OFFSET: 1
; COMPUTE_PGM_RSRC3_GFX90A:TG_SPLIT: 0
	.section	.text._Z24warp_reduce_valid_kernelI12hip_bfloat16Lj32ELj2EENSt9enable_ifIXsr10test_utilsE35device_test_enabled_for_warp_size_vIXT1_EEEvE4typeEPT_S5_i,"axG",@progbits,_Z24warp_reduce_valid_kernelI12hip_bfloat16Lj32ELj2EENSt9enable_ifIXsr10test_utilsE35device_test_enabled_for_warp_size_vIXT1_EEEvE4typeEPT_S5_i,comdat
	.protected	_Z24warp_reduce_valid_kernelI12hip_bfloat16Lj32ELj2EENSt9enable_ifIXsr10test_utilsE35device_test_enabled_for_warp_size_vIXT1_EEEvE4typeEPT_S5_i ; -- Begin function _Z24warp_reduce_valid_kernelI12hip_bfloat16Lj32ELj2EENSt9enable_ifIXsr10test_utilsE35device_test_enabled_for_warp_size_vIXT1_EEEvE4typeEPT_S5_i
	.globl	_Z24warp_reduce_valid_kernelI12hip_bfloat16Lj32ELj2EENSt9enable_ifIXsr10test_utilsE35device_test_enabled_for_warp_size_vIXT1_EEEvE4typeEPT_S5_i
	.p2align	8
	.type	_Z24warp_reduce_valid_kernelI12hip_bfloat16Lj32ELj2EENSt9enable_ifIXsr10test_utilsE35device_test_enabled_for_warp_size_vIXT1_EEEvE4typeEPT_S5_i,@function
_Z24warp_reduce_valid_kernelI12hip_bfloat16Lj32ELj2EENSt9enable_ifIXsr10test_utilsE35device_test_enabled_for_warp_size_vIXT1_EEEvE4typeEPT_S5_i: ; @_Z24warp_reduce_valid_kernelI12hip_bfloat16Lj32ELj2EENSt9enable_ifIXsr10test_utilsE35device_test_enabled_for_warp_size_vIXT1_EEEvE4typeEPT_S5_i
; %bb.0:
	s_load_dword s7, s[4:5], 0x24
	s_load_dwordx4 s[0:3], s[4:5], 0x0
	s_load_dword s8, s[4:5], 0x10
	v_mov_b32_e32 v3, 0
	s_waitcnt lgkmcnt(0)
	s_and_b32 s4, s7, 0xffff
	s_mul_i32 s6, s6, s4
	v_add_u32_e32 v2, s6, v0
	v_lshlrev_b64 v[4:5], 1, v[2:3]
	v_mov_b32_e32 v1, s1
	v_add_co_u32_e32 v4, vcc, s0, v4
	v_addc_co_u32_e32 v5, vcc, v1, v5, vcc
	global_load_ushort v1, v[4:5], off
	v_mbcnt_lo_u32_b32 v3, -1, 0
	v_mbcnt_hi_u32_b32 v5, -1, v3
	v_lshl_or_b32 v4, v5, 2, 4
	v_and_b32_e32 v5, 1, v5
	v_add_u32_e32 v5, 1, v5
	v_cmp_gt_u32_e32 vcc, s8, v5
	s_waitcnt vmcnt(0)
	v_and_b32_e32 v3, 0xffff, v1
	ds_bpermute_b32 v4, v4, v3
	s_and_saveexec_b64 s[0:1], vcc
	s_cbranch_execz .LBB91_6
; %bb.1:
	s_waitcnt lgkmcnt(0)
	v_lshlrev_b32_e32 v4, 16, v4
	v_lshlrev_b32_e32 v6, 16, v3
	v_pk_add_f32 v[4:5], v[4:5], v[6:7] op_sel_hi:[0,1]
	s_mov_b32 s4, 0x7f800000
	v_and_b32_e32 v1, 0x7f800000, v4
	v_cmp_ne_u32_e32 vcc, s4, v1
                                        ; implicit-def: $vgpr1
	s_and_saveexec_b64 s[4:5], vcc
	s_xor_b64 s[4:5], exec, s[4:5]
; %bb.2:
	v_bfe_u32 v1, v4, 16, 1
	s_movk_i32 s6, 0x7fff
	v_add3_u32 v1, v4, v1, s6
                                        ; implicit-def: $vgpr4_vgpr5
; %bb.3:
	s_andn2_saveexec_b64 s[4:5], s[4:5]
; %bb.4:
	v_mov_b32_e32 v1, 0
	v_or_b32_e32 v3, 0x10000, v4
	v_cmp_eq_u32_sdwa vcc, v4, v1 src0_sel:WORD_0 src1_sel:DWORD
	v_cndmask_b32_e32 v1, v3, v4, vcc
; %bb.5:
	s_or_b64 exec, exec, s[4:5]
	v_lshrrev_b32_e32 v1, 16, v1
.LBB91_6:
	s_or_b64 exec, exec, s[0:1]
	v_and_b32_e32 v0, 1, v0
	v_cmp_eq_u32_e32 vcc, 0, v0
	s_and_saveexec_b64 s[0:1], vcc
	s_cbranch_execz .LBB91_8
; %bb.7:
	v_and_b32_e32 v0, -2, v2
	global_store_short v0, v1, s[2:3]
.LBB91_8:
	s_endpgm
	.section	.rodata,"a",@progbits
	.p2align	6, 0x0
	.amdhsa_kernel _Z24warp_reduce_valid_kernelI12hip_bfloat16Lj32ELj2EENSt9enable_ifIXsr10test_utilsE35device_test_enabled_for_warp_size_vIXT1_EEEvE4typeEPT_S5_i
		.amdhsa_group_segment_fixed_size 0
		.amdhsa_private_segment_fixed_size 0
		.amdhsa_kernarg_size 280
		.amdhsa_user_sgpr_count 6
		.amdhsa_user_sgpr_private_segment_buffer 1
		.amdhsa_user_sgpr_dispatch_ptr 0
		.amdhsa_user_sgpr_queue_ptr 0
		.amdhsa_user_sgpr_kernarg_segment_ptr 1
		.amdhsa_user_sgpr_dispatch_id 0
		.amdhsa_user_sgpr_flat_scratch_init 0
		.amdhsa_user_sgpr_kernarg_preload_length 0
		.amdhsa_user_sgpr_kernarg_preload_offset 0
		.amdhsa_user_sgpr_private_segment_size 0
		.amdhsa_uses_dynamic_stack 0
		.amdhsa_system_sgpr_private_segment_wavefront_offset 0
		.amdhsa_system_sgpr_workgroup_id_x 1
		.amdhsa_system_sgpr_workgroup_id_y 0
		.amdhsa_system_sgpr_workgroup_id_z 0
		.amdhsa_system_sgpr_workgroup_info 0
		.amdhsa_system_vgpr_workitem_id 0
		.amdhsa_next_free_vgpr 8
		.amdhsa_next_free_sgpr 9
		.amdhsa_accum_offset 8
		.amdhsa_reserve_vcc 1
		.amdhsa_reserve_flat_scratch 0
		.amdhsa_float_round_mode_32 0
		.amdhsa_float_round_mode_16_64 0
		.amdhsa_float_denorm_mode_32 3
		.amdhsa_float_denorm_mode_16_64 3
		.amdhsa_dx10_clamp 1
		.amdhsa_ieee_mode 1
		.amdhsa_fp16_overflow 0
		.amdhsa_tg_split 0
		.amdhsa_exception_fp_ieee_invalid_op 0
		.amdhsa_exception_fp_denorm_src 0
		.amdhsa_exception_fp_ieee_div_zero 0
		.amdhsa_exception_fp_ieee_overflow 0
		.amdhsa_exception_fp_ieee_underflow 0
		.amdhsa_exception_fp_ieee_inexact 0
		.amdhsa_exception_int_div_zero 0
	.end_amdhsa_kernel
	.section	.text._Z24warp_reduce_valid_kernelI12hip_bfloat16Lj32ELj2EENSt9enable_ifIXsr10test_utilsE35device_test_enabled_for_warp_size_vIXT1_EEEvE4typeEPT_S5_i,"axG",@progbits,_Z24warp_reduce_valid_kernelI12hip_bfloat16Lj32ELj2EENSt9enable_ifIXsr10test_utilsE35device_test_enabled_for_warp_size_vIXT1_EEEvE4typeEPT_S5_i,comdat
.Lfunc_end91:
	.size	_Z24warp_reduce_valid_kernelI12hip_bfloat16Lj32ELj2EENSt9enable_ifIXsr10test_utilsE35device_test_enabled_for_warp_size_vIXT1_EEEvE4typeEPT_S5_i, .Lfunc_end91-_Z24warp_reduce_valid_kernelI12hip_bfloat16Lj32ELj2EENSt9enable_ifIXsr10test_utilsE35device_test_enabled_for_warp_size_vIXT1_EEEvE4typeEPT_S5_i
                                        ; -- End function
	.section	.AMDGPU.csdata,"",@progbits
; Kernel info:
; codeLenInByte = 280
; NumSgprs: 13
; NumVgprs: 8
; NumAgprs: 0
; TotalNumVgprs: 8
; ScratchSize: 0
; MemoryBound: 0
; FloatMode: 240
; IeeeMode: 1
; LDSByteSize: 0 bytes/workgroup (compile time only)
; SGPRBlocks: 1
; VGPRBlocks: 0
; NumSGPRsForWavesPerEU: 13
; NumVGPRsForWavesPerEU: 8
; AccumOffset: 8
; Occupancy: 8
; WaveLimiterHint : 0
; COMPUTE_PGM_RSRC2:SCRATCH_EN: 0
; COMPUTE_PGM_RSRC2:USER_SGPR: 6
; COMPUTE_PGM_RSRC2:TRAP_HANDLER: 0
; COMPUTE_PGM_RSRC2:TGID_X_EN: 1
; COMPUTE_PGM_RSRC2:TGID_Y_EN: 0
; COMPUTE_PGM_RSRC2:TGID_Z_EN: 0
; COMPUTE_PGM_RSRC2:TIDIG_COMP_CNT: 0
; COMPUTE_PGM_RSRC3_GFX90A:ACCUM_OFFSET: 1
; COMPUTE_PGM_RSRC3_GFX90A:TG_SPLIT: 0
	.section	.text._Z24warp_reduce_valid_kernelI12hip_bfloat16Lj64ELj2EENSt9enable_ifIXsr10test_utilsE35device_test_enabled_for_warp_size_vIXT1_EEEvE4typeEPT_S5_i,"axG",@progbits,_Z24warp_reduce_valid_kernelI12hip_bfloat16Lj64ELj2EENSt9enable_ifIXsr10test_utilsE35device_test_enabled_for_warp_size_vIXT1_EEEvE4typeEPT_S5_i,comdat
	.protected	_Z24warp_reduce_valid_kernelI12hip_bfloat16Lj64ELj2EENSt9enable_ifIXsr10test_utilsE35device_test_enabled_for_warp_size_vIXT1_EEEvE4typeEPT_S5_i ; -- Begin function _Z24warp_reduce_valid_kernelI12hip_bfloat16Lj64ELj2EENSt9enable_ifIXsr10test_utilsE35device_test_enabled_for_warp_size_vIXT1_EEEvE4typeEPT_S5_i
	.globl	_Z24warp_reduce_valid_kernelI12hip_bfloat16Lj64ELj2EENSt9enable_ifIXsr10test_utilsE35device_test_enabled_for_warp_size_vIXT1_EEEvE4typeEPT_S5_i
	.p2align	8
	.type	_Z24warp_reduce_valid_kernelI12hip_bfloat16Lj64ELj2EENSt9enable_ifIXsr10test_utilsE35device_test_enabled_for_warp_size_vIXT1_EEEvE4typeEPT_S5_i,@function
_Z24warp_reduce_valid_kernelI12hip_bfloat16Lj64ELj2EENSt9enable_ifIXsr10test_utilsE35device_test_enabled_for_warp_size_vIXT1_EEEvE4typeEPT_S5_i: ; @_Z24warp_reduce_valid_kernelI12hip_bfloat16Lj64ELj2EENSt9enable_ifIXsr10test_utilsE35device_test_enabled_for_warp_size_vIXT1_EEEvE4typeEPT_S5_i
; %bb.0:
	s_load_dword s7, s[4:5], 0x24
	s_load_dwordx4 s[0:3], s[4:5], 0x0
	s_load_dword s8, s[4:5], 0x10
	v_mov_b32_e32 v3, 0
	s_waitcnt lgkmcnt(0)
	s_and_b32 s4, s7, 0xffff
	s_mul_i32 s6, s6, s4
	v_add_u32_e32 v2, s6, v0
	v_lshlrev_b64 v[4:5], 1, v[2:3]
	v_mov_b32_e32 v1, s1
	v_add_co_u32_e32 v4, vcc, s0, v4
	v_addc_co_u32_e32 v5, vcc, v1, v5, vcc
	global_load_ushort v1, v[4:5], off
	v_mbcnt_lo_u32_b32 v3, -1, 0
	v_mbcnt_hi_u32_b32 v5, -1, v3
	v_lshl_or_b32 v4, v5, 2, 4
	v_and_b32_e32 v5, 1, v5
	v_add_u32_e32 v5, 1, v5
	v_cmp_gt_u32_e32 vcc, s8, v5
	s_waitcnt vmcnt(0)
	v_and_b32_e32 v3, 0xffff, v1
	ds_bpermute_b32 v4, v4, v3
	s_and_saveexec_b64 s[0:1], vcc
	s_cbranch_execz .LBB92_6
; %bb.1:
	s_waitcnt lgkmcnt(0)
	v_lshlrev_b32_e32 v4, 16, v4
	v_lshlrev_b32_e32 v6, 16, v3
	v_pk_add_f32 v[4:5], v[4:5], v[6:7] op_sel_hi:[0,1]
	s_mov_b32 s4, 0x7f800000
	v_and_b32_e32 v1, 0x7f800000, v4
	v_cmp_ne_u32_e32 vcc, s4, v1
                                        ; implicit-def: $vgpr1
	s_and_saveexec_b64 s[4:5], vcc
	s_xor_b64 s[4:5], exec, s[4:5]
; %bb.2:
	v_bfe_u32 v1, v4, 16, 1
	s_movk_i32 s6, 0x7fff
	v_add3_u32 v1, v4, v1, s6
                                        ; implicit-def: $vgpr4_vgpr5
; %bb.3:
	s_andn2_saveexec_b64 s[4:5], s[4:5]
; %bb.4:
	v_mov_b32_e32 v1, 0
	v_or_b32_e32 v3, 0x10000, v4
	v_cmp_eq_u32_sdwa vcc, v4, v1 src0_sel:WORD_0 src1_sel:DWORD
	v_cndmask_b32_e32 v1, v3, v4, vcc
; %bb.5:
	s_or_b64 exec, exec, s[4:5]
	v_lshrrev_b32_e32 v1, 16, v1
.LBB92_6:
	s_or_b64 exec, exec, s[0:1]
	v_and_b32_e32 v0, 1, v0
	v_cmp_eq_u32_e32 vcc, 0, v0
	s_and_saveexec_b64 s[0:1], vcc
	s_cbranch_execz .LBB92_8
; %bb.7:
	v_and_b32_e32 v0, -2, v2
	global_store_short v0, v1, s[2:3]
.LBB92_8:
	s_endpgm
	.section	.rodata,"a",@progbits
	.p2align	6, 0x0
	.amdhsa_kernel _Z24warp_reduce_valid_kernelI12hip_bfloat16Lj64ELj2EENSt9enable_ifIXsr10test_utilsE35device_test_enabled_for_warp_size_vIXT1_EEEvE4typeEPT_S5_i
		.amdhsa_group_segment_fixed_size 0
		.amdhsa_private_segment_fixed_size 0
		.amdhsa_kernarg_size 280
		.amdhsa_user_sgpr_count 6
		.amdhsa_user_sgpr_private_segment_buffer 1
		.amdhsa_user_sgpr_dispatch_ptr 0
		.amdhsa_user_sgpr_queue_ptr 0
		.amdhsa_user_sgpr_kernarg_segment_ptr 1
		.amdhsa_user_sgpr_dispatch_id 0
		.amdhsa_user_sgpr_flat_scratch_init 0
		.amdhsa_user_sgpr_kernarg_preload_length 0
		.amdhsa_user_sgpr_kernarg_preload_offset 0
		.amdhsa_user_sgpr_private_segment_size 0
		.amdhsa_uses_dynamic_stack 0
		.amdhsa_system_sgpr_private_segment_wavefront_offset 0
		.amdhsa_system_sgpr_workgroup_id_x 1
		.amdhsa_system_sgpr_workgroup_id_y 0
		.amdhsa_system_sgpr_workgroup_id_z 0
		.amdhsa_system_sgpr_workgroup_info 0
		.amdhsa_system_vgpr_workitem_id 0
		.amdhsa_next_free_vgpr 8
		.amdhsa_next_free_sgpr 9
		.amdhsa_accum_offset 8
		.amdhsa_reserve_vcc 1
		.amdhsa_reserve_flat_scratch 0
		.amdhsa_float_round_mode_32 0
		.amdhsa_float_round_mode_16_64 0
		.amdhsa_float_denorm_mode_32 3
		.amdhsa_float_denorm_mode_16_64 3
		.amdhsa_dx10_clamp 1
		.amdhsa_ieee_mode 1
		.amdhsa_fp16_overflow 0
		.amdhsa_tg_split 0
		.amdhsa_exception_fp_ieee_invalid_op 0
		.amdhsa_exception_fp_denorm_src 0
		.amdhsa_exception_fp_ieee_div_zero 0
		.amdhsa_exception_fp_ieee_overflow 0
		.amdhsa_exception_fp_ieee_underflow 0
		.amdhsa_exception_fp_ieee_inexact 0
		.amdhsa_exception_int_div_zero 0
	.end_amdhsa_kernel
	.section	.text._Z24warp_reduce_valid_kernelI12hip_bfloat16Lj64ELj2EENSt9enable_ifIXsr10test_utilsE35device_test_enabled_for_warp_size_vIXT1_EEEvE4typeEPT_S5_i,"axG",@progbits,_Z24warp_reduce_valid_kernelI12hip_bfloat16Lj64ELj2EENSt9enable_ifIXsr10test_utilsE35device_test_enabled_for_warp_size_vIXT1_EEEvE4typeEPT_S5_i,comdat
.Lfunc_end92:
	.size	_Z24warp_reduce_valid_kernelI12hip_bfloat16Lj64ELj2EENSt9enable_ifIXsr10test_utilsE35device_test_enabled_for_warp_size_vIXT1_EEEvE4typeEPT_S5_i, .Lfunc_end92-_Z24warp_reduce_valid_kernelI12hip_bfloat16Lj64ELj2EENSt9enable_ifIXsr10test_utilsE35device_test_enabled_for_warp_size_vIXT1_EEEvE4typeEPT_S5_i
                                        ; -- End function
	.section	.AMDGPU.csdata,"",@progbits
; Kernel info:
; codeLenInByte = 280
; NumSgprs: 13
; NumVgprs: 8
; NumAgprs: 0
; TotalNumVgprs: 8
; ScratchSize: 0
; MemoryBound: 0
; FloatMode: 240
; IeeeMode: 1
; LDSByteSize: 0 bytes/workgroup (compile time only)
; SGPRBlocks: 1
; VGPRBlocks: 0
; NumSGPRsForWavesPerEU: 13
; NumVGPRsForWavesPerEU: 8
; AccumOffset: 8
; Occupancy: 8
; WaveLimiterHint : 0
; COMPUTE_PGM_RSRC2:SCRATCH_EN: 0
; COMPUTE_PGM_RSRC2:USER_SGPR: 6
; COMPUTE_PGM_RSRC2:TRAP_HANDLER: 0
; COMPUTE_PGM_RSRC2:TGID_X_EN: 1
; COMPUTE_PGM_RSRC2:TGID_Y_EN: 0
; COMPUTE_PGM_RSRC2:TGID_Z_EN: 0
; COMPUTE_PGM_RSRC2:TIDIG_COMP_CNT: 0
; COMPUTE_PGM_RSRC3_GFX90A:ACCUM_OFFSET: 1
; COMPUTE_PGM_RSRC3_GFX90A:TG_SPLIT: 0
	.section	.text._Z24warp_reduce_valid_kernelI12hip_bfloat16Lj32ELj1EENSt9enable_ifIXsr10test_utilsE35device_test_enabled_for_warp_size_vIXT1_EEEvE4typeEPT_S5_i,"axG",@progbits,_Z24warp_reduce_valid_kernelI12hip_bfloat16Lj32ELj1EENSt9enable_ifIXsr10test_utilsE35device_test_enabled_for_warp_size_vIXT1_EEEvE4typeEPT_S5_i,comdat
	.protected	_Z24warp_reduce_valid_kernelI12hip_bfloat16Lj32ELj1EENSt9enable_ifIXsr10test_utilsE35device_test_enabled_for_warp_size_vIXT1_EEEvE4typeEPT_S5_i ; -- Begin function _Z24warp_reduce_valid_kernelI12hip_bfloat16Lj32ELj1EENSt9enable_ifIXsr10test_utilsE35device_test_enabled_for_warp_size_vIXT1_EEEvE4typeEPT_S5_i
	.globl	_Z24warp_reduce_valid_kernelI12hip_bfloat16Lj32ELj1EENSt9enable_ifIXsr10test_utilsE35device_test_enabled_for_warp_size_vIXT1_EEEvE4typeEPT_S5_i
	.p2align	8
	.type	_Z24warp_reduce_valid_kernelI12hip_bfloat16Lj32ELj1EENSt9enable_ifIXsr10test_utilsE35device_test_enabled_for_warp_size_vIXT1_EEEvE4typeEPT_S5_i,@function
_Z24warp_reduce_valid_kernelI12hip_bfloat16Lj32ELj1EENSt9enable_ifIXsr10test_utilsE35device_test_enabled_for_warp_size_vIXT1_EEEvE4typeEPT_S5_i: ; @_Z24warp_reduce_valid_kernelI12hip_bfloat16Lj32ELj1EENSt9enable_ifIXsr10test_utilsE35device_test_enabled_for_warp_size_vIXT1_EEEvE4typeEPT_S5_i
; %bb.0:
	s_load_dword s7, s[4:5], 0x24
	s_load_dwordx4 s[0:3], s[4:5], 0x0
	v_mov_b32_e32 v1, 0
	s_waitcnt lgkmcnt(0)
	s_and_b32 s4, s7, 0xffff
	s_mul_i32 s6, s6, s4
	v_add_u32_e32 v0, s6, v0
	v_lshlrev_b64 v[0:1], 1, v[0:1]
	v_mov_b32_e32 v3, s1
	v_add_co_u32_e32 v2, vcc, s0, v0
	v_addc_co_u32_e32 v3, vcc, v3, v1, vcc
	global_load_ushort v2, v[2:3], off
	v_mov_b32_e32 v3, s3
	v_add_co_u32_e32 v0, vcc, s2, v0
	v_addc_co_u32_e32 v1, vcc, v3, v1, vcc
	s_waitcnt vmcnt(0)
	global_store_short v[0:1], v2, off
	s_endpgm
	.section	.rodata,"a",@progbits
	.p2align	6, 0x0
	.amdhsa_kernel _Z24warp_reduce_valid_kernelI12hip_bfloat16Lj32ELj1EENSt9enable_ifIXsr10test_utilsE35device_test_enabled_for_warp_size_vIXT1_EEEvE4typeEPT_S5_i
		.amdhsa_group_segment_fixed_size 0
		.amdhsa_private_segment_fixed_size 0
		.amdhsa_kernarg_size 280
		.amdhsa_user_sgpr_count 6
		.amdhsa_user_sgpr_private_segment_buffer 1
		.amdhsa_user_sgpr_dispatch_ptr 0
		.amdhsa_user_sgpr_queue_ptr 0
		.amdhsa_user_sgpr_kernarg_segment_ptr 1
		.amdhsa_user_sgpr_dispatch_id 0
		.amdhsa_user_sgpr_flat_scratch_init 0
		.amdhsa_user_sgpr_kernarg_preload_length 0
		.amdhsa_user_sgpr_kernarg_preload_offset 0
		.amdhsa_user_sgpr_private_segment_size 0
		.amdhsa_uses_dynamic_stack 0
		.amdhsa_system_sgpr_private_segment_wavefront_offset 0
		.amdhsa_system_sgpr_workgroup_id_x 1
		.amdhsa_system_sgpr_workgroup_id_y 0
		.amdhsa_system_sgpr_workgroup_id_z 0
		.amdhsa_system_sgpr_workgroup_info 0
		.amdhsa_system_vgpr_workitem_id 0
		.amdhsa_next_free_vgpr 4
		.amdhsa_next_free_sgpr 8
		.amdhsa_accum_offset 4
		.amdhsa_reserve_vcc 1
		.amdhsa_reserve_flat_scratch 0
		.amdhsa_float_round_mode_32 0
		.amdhsa_float_round_mode_16_64 0
		.amdhsa_float_denorm_mode_32 3
		.amdhsa_float_denorm_mode_16_64 3
		.amdhsa_dx10_clamp 1
		.amdhsa_ieee_mode 1
		.amdhsa_fp16_overflow 0
		.amdhsa_tg_split 0
		.amdhsa_exception_fp_ieee_invalid_op 0
		.amdhsa_exception_fp_denorm_src 0
		.amdhsa_exception_fp_ieee_div_zero 0
		.amdhsa_exception_fp_ieee_overflow 0
		.amdhsa_exception_fp_ieee_underflow 0
		.amdhsa_exception_fp_ieee_inexact 0
		.amdhsa_exception_int_div_zero 0
	.end_amdhsa_kernel
	.section	.text._Z24warp_reduce_valid_kernelI12hip_bfloat16Lj32ELj1EENSt9enable_ifIXsr10test_utilsE35device_test_enabled_for_warp_size_vIXT1_EEEvE4typeEPT_S5_i,"axG",@progbits,_Z24warp_reduce_valid_kernelI12hip_bfloat16Lj32ELj1EENSt9enable_ifIXsr10test_utilsE35device_test_enabled_for_warp_size_vIXT1_EEEvE4typeEPT_S5_i,comdat
.Lfunc_end93:
	.size	_Z24warp_reduce_valid_kernelI12hip_bfloat16Lj32ELj1EENSt9enable_ifIXsr10test_utilsE35device_test_enabled_for_warp_size_vIXT1_EEEvE4typeEPT_S5_i, .Lfunc_end93-_Z24warp_reduce_valid_kernelI12hip_bfloat16Lj32ELj1EENSt9enable_ifIXsr10test_utilsE35device_test_enabled_for_warp_size_vIXT1_EEEvE4typeEPT_S5_i
                                        ; -- End function
	.section	.AMDGPU.csdata,"",@progbits
; Kernel info:
; codeLenInByte = 96
; NumSgprs: 12
; NumVgprs: 4
; NumAgprs: 0
; TotalNumVgprs: 4
; ScratchSize: 0
; MemoryBound: 0
; FloatMode: 240
; IeeeMode: 1
; LDSByteSize: 0 bytes/workgroup (compile time only)
; SGPRBlocks: 1
; VGPRBlocks: 0
; NumSGPRsForWavesPerEU: 12
; NumVGPRsForWavesPerEU: 4
; AccumOffset: 4
; Occupancy: 8
; WaveLimiterHint : 0
; COMPUTE_PGM_RSRC2:SCRATCH_EN: 0
; COMPUTE_PGM_RSRC2:USER_SGPR: 6
; COMPUTE_PGM_RSRC2:TRAP_HANDLER: 0
; COMPUTE_PGM_RSRC2:TGID_X_EN: 1
; COMPUTE_PGM_RSRC2:TGID_Y_EN: 0
; COMPUTE_PGM_RSRC2:TGID_Z_EN: 0
; COMPUTE_PGM_RSRC2:TIDIG_COMP_CNT: 0
; COMPUTE_PGM_RSRC3_GFX90A:ACCUM_OFFSET: 0
; COMPUTE_PGM_RSRC3_GFX90A:TG_SPLIT: 0
	.section	.text._Z24warp_reduce_valid_kernelI12hip_bfloat16Lj64ELj1EENSt9enable_ifIXsr10test_utilsE35device_test_enabled_for_warp_size_vIXT1_EEEvE4typeEPT_S5_i,"axG",@progbits,_Z24warp_reduce_valid_kernelI12hip_bfloat16Lj64ELj1EENSt9enable_ifIXsr10test_utilsE35device_test_enabled_for_warp_size_vIXT1_EEEvE4typeEPT_S5_i,comdat
	.protected	_Z24warp_reduce_valid_kernelI12hip_bfloat16Lj64ELj1EENSt9enable_ifIXsr10test_utilsE35device_test_enabled_for_warp_size_vIXT1_EEEvE4typeEPT_S5_i ; -- Begin function _Z24warp_reduce_valid_kernelI12hip_bfloat16Lj64ELj1EENSt9enable_ifIXsr10test_utilsE35device_test_enabled_for_warp_size_vIXT1_EEEvE4typeEPT_S5_i
	.globl	_Z24warp_reduce_valid_kernelI12hip_bfloat16Lj64ELj1EENSt9enable_ifIXsr10test_utilsE35device_test_enabled_for_warp_size_vIXT1_EEEvE4typeEPT_S5_i
	.p2align	8
	.type	_Z24warp_reduce_valid_kernelI12hip_bfloat16Lj64ELj1EENSt9enable_ifIXsr10test_utilsE35device_test_enabled_for_warp_size_vIXT1_EEEvE4typeEPT_S5_i,@function
_Z24warp_reduce_valid_kernelI12hip_bfloat16Lj64ELj1EENSt9enable_ifIXsr10test_utilsE35device_test_enabled_for_warp_size_vIXT1_EEEvE4typeEPT_S5_i: ; @_Z24warp_reduce_valid_kernelI12hip_bfloat16Lj64ELj1EENSt9enable_ifIXsr10test_utilsE35device_test_enabled_for_warp_size_vIXT1_EEEvE4typeEPT_S5_i
; %bb.0:
	s_load_dword s7, s[4:5], 0x24
	s_load_dwordx4 s[0:3], s[4:5], 0x0
	v_mov_b32_e32 v1, 0
	s_waitcnt lgkmcnt(0)
	s_and_b32 s4, s7, 0xffff
	s_mul_i32 s6, s6, s4
	v_add_u32_e32 v0, s6, v0
	v_lshlrev_b64 v[0:1], 1, v[0:1]
	v_mov_b32_e32 v3, s1
	v_add_co_u32_e32 v2, vcc, s0, v0
	v_addc_co_u32_e32 v3, vcc, v3, v1, vcc
	global_load_ushort v2, v[2:3], off
	v_mov_b32_e32 v3, s3
	v_add_co_u32_e32 v0, vcc, s2, v0
	v_addc_co_u32_e32 v1, vcc, v3, v1, vcc
	s_waitcnt vmcnt(0)
	global_store_short v[0:1], v2, off
	s_endpgm
	.section	.rodata,"a",@progbits
	.p2align	6, 0x0
	.amdhsa_kernel _Z24warp_reduce_valid_kernelI12hip_bfloat16Lj64ELj1EENSt9enable_ifIXsr10test_utilsE35device_test_enabled_for_warp_size_vIXT1_EEEvE4typeEPT_S5_i
		.amdhsa_group_segment_fixed_size 0
		.amdhsa_private_segment_fixed_size 0
		.amdhsa_kernarg_size 280
		.amdhsa_user_sgpr_count 6
		.amdhsa_user_sgpr_private_segment_buffer 1
		.amdhsa_user_sgpr_dispatch_ptr 0
		.amdhsa_user_sgpr_queue_ptr 0
		.amdhsa_user_sgpr_kernarg_segment_ptr 1
		.amdhsa_user_sgpr_dispatch_id 0
		.amdhsa_user_sgpr_flat_scratch_init 0
		.amdhsa_user_sgpr_kernarg_preload_length 0
		.amdhsa_user_sgpr_kernarg_preload_offset 0
		.amdhsa_user_sgpr_private_segment_size 0
		.amdhsa_uses_dynamic_stack 0
		.amdhsa_system_sgpr_private_segment_wavefront_offset 0
		.amdhsa_system_sgpr_workgroup_id_x 1
		.amdhsa_system_sgpr_workgroup_id_y 0
		.amdhsa_system_sgpr_workgroup_id_z 0
		.amdhsa_system_sgpr_workgroup_info 0
		.amdhsa_system_vgpr_workitem_id 0
		.amdhsa_next_free_vgpr 4
		.amdhsa_next_free_sgpr 8
		.amdhsa_accum_offset 4
		.amdhsa_reserve_vcc 1
		.amdhsa_reserve_flat_scratch 0
		.amdhsa_float_round_mode_32 0
		.amdhsa_float_round_mode_16_64 0
		.amdhsa_float_denorm_mode_32 3
		.amdhsa_float_denorm_mode_16_64 3
		.amdhsa_dx10_clamp 1
		.amdhsa_ieee_mode 1
		.amdhsa_fp16_overflow 0
		.amdhsa_tg_split 0
		.amdhsa_exception_fp_ieee_invalid_op 0
		.amdhsa_exception_fp_denorm_src 0
		.amdhsa_exception_fp_ieee_div_zero 0
		.amdhsa_exception_fp_ieee_overflow 0
		.amdhsa_exception_fp_ieee_underflow 0
		.amdhsa_exception_fp_ieee_inexact 0
		.amdhsa_exception_int_div_zero 0
	.end_amdhsa_kernel
	.section	.text._Z24warp_reduce_valid_kernelI12hip_bfloat16Lj64ELj1EENSt9enable_ifIXsr10test_utilsE35device_test_enabled_for_warp_size_vIXT1_EEEvE4typeEPT_S5_i,"axG",@progbits,_Z24warp_reduce_valid_kernelI12hip_bfloat16Lj64ELj1EENSt9enable_ifIXsr10test_utilsE35device_test_enabled_for_warp_size_vIXT1_EEEvE4typeEPT_S5_i,comdat
.Lfunc_end94:
	.size	_Z24warp_reduce_valid_kernelI12hip_bfloat16Lj64ELj1EENSt9enable_ifIXsr10test_utilsE35device_test_enabled_for_warp_size_vIXT1_EEEvE4typeEPT_S5_i, .Lfunc_end94-_Z24warp_reduce_valid_kernelI12hip_bfloat16Lj64ELj1EENSt9enable_ifIXsr10test_utilsE35device_test_enabled_for_warp_size_vIXT1_EEEvE4typeEPT_S5_i
                                        ; -- End function
	.section	.AMDGPU.csdata,"",@progbits
; Kernel info:
; codeLenInByte = 96
; NumSgprs: 12
; NumVgprs: 4
; NumAgprs: 0
; TotalNumVgprs: 4
; ScratchSize: 0
; MemoryBound: 0
; FloatMode: 240
; IeeeMode: 1
; LDSByteSize: 0 bytes/workgroup (compile time only)
; SGPRBlocks: 1
; VGPRBlocks: 0
; NumSGPRsForWavesPerEU: 12
; NumVGPRsForWavesPerEU: 4
; AccumOffset: 4
; Occupancy: 8
; WaveLimiterHint : 0
; COMPUTE_PGM_RSRC2:SCRATCH_EN: 0
; COMPUTE_PGM_RSRC2:USER_SGPR: 6
; COMPUTE_PGM_RSRC2:TRAP_HANDLER: 0
; COMPUTE_PGM_RSRC2:TGID_X_EN: 1
; COMPUTE_PGM_RSRC2:TGID_Y_EN: 0
; COMPUTE_PGM_RSRC2:TGID_Z_EN: 0
; COMPUTE_PGM_RSRC2:TIDIG_COMP_CNT: 0
; COMPUTE_PGM_RSRC3_GFX90A:ACCUM_OFFSET: 0
; COMPUTE_PGM_RSRC3_GFX90A:TG_SPLIT: 0
	.section	.text._Z24warp_reduce_valid_kernelI6__halfLj256ELj64EENSt9enable_ifIXsr10test_utilsE35device_test_enabled_for_warp_size_vIXT1_EEEvE4typeEPT_S5_i,"axG",@progbits,_Z24warp_reduce_valid_kernelI6__halfLj256ELj64EENSt9enable_ifIXsr10test_utilsE35device_test_enabled_for_warp_size_vIXT1_EEEvE4typeEPT_S5_i,comdat
	.protected	_Z24warp_reduce_valid_kernelI6__halfLj256ELj64EENSt9enable_ifIXsr10test_utilsE35device_test_enabled_for_warp_size_vIXT1_EEEvE4typeEPT_S5_i ; -- Begin function _Z24warp_reduce_valid_kernelI6__halfLj256ELj64EENSt9enable_ifIXsr10test_utilsE35device_test_enabled_for_warp_size_vIXT1_EEEvE4typeEPT_S5_i
	.globl	_Z24warp_reduce_valid_kernelI6__halfLj256ELj64EENSt9enable_ifIXsr10test_utilsE35device_test_enabled_for_warp_size_vIXT1_EEEvE4typeEPT_S5_i
	.p2align	8
	.type	_Z24warp_reduce_valid_kernelI6__halfLj256ELj64EENSt9enable_ifIXsr10test_utilsE35device_test_enabled_for_warp_size_vIXT1_EEEvE4typeEPT_S5_i,@function
_Z24warp_reduce_valid_kernelI6__halfLj256ELj64EENSt9enable_ifIXsr10test_utilsE35device_test_enabled_for_warp_size_vIXT1_EEEvE4typeEPT_S5_i: ; @_Z24warp_reduce_valid_kernelI6__halfLj256ELj64EENSt9enable_ifIXsr10test_utilsE35device_test_enabled_for_warp_size_vIXT1_EEEvE4typeEPT_S5_i
; %bb.0:
	s_load_dword s0, s[4:5], 0x24
	s_load_dwordx4 s[8:11], s[4:5], 0x0
	s_load_dword s12, s[4:5], 0x10
	v_mov_b32_e32 v3, 0
	s_waitcnt lgkmcnt(0)
	s_and_b32 s0, s0, 0xffff
	s_mul_i32 s6, s6, s0
	v_add_u32_e32 v2, s6, v0
	v_lshlrev_b64 v[4:5], 1, v[2:3]
	v_mov_b32_e32 v1, s9
	v_add_co_u32_e32 v4, vcc, s8, v4
	v_addc_co_u32_e32 v5, vcc, v1, v5, vcc
	global_load_ushort v1, v[4:5], off
	v_mbcnt_lo_u32_b32 v3, -1, 0
	v_mbcnt_hi_u32_b32 v10, -1, v3
	v_and_b32_e32 v5, 63, v10
	v_cmp_ne_u32_e32 vcc, 63, v5
	v_addc_co_u32_e32 v3, vcc, 0, v10, vcc
	v_lshlrev_b32_e32 v3, 2, v3
	v_cmp_gt_u32_e32 vcc, 62, v5
	v_add_u32_e32 v4, 1, v10
	v_cndmask_b32_e64 v11, 0, 1, vcc
	v_lshlrev_b32_e32 v11, 1, v11
	v_cmp_gt_u32_e64 s[4:5], s12, v4
	v_add_lshl_u32 v11, v11, v10, 2
	v_cmp_gt_u32_e32 vcc, 60, v5
	v_cndmask_b32_e64 v12, 0, 1, vcc
	v_cmp_gt_u32_e32 vcc, 56, v5
	v_add_u32_e32 v6, 2, v10
	v_cndmask_b32_e64 v14, 0, 1, vcc
	v_cmp_gt_u32_e32 vcc, 48, v5
	v_lshlrev_b32_e32 v12, 2, v12
	v_add_lshl_u32 v12, v12, v10, 2
	v_add_u32_e32 v7, 4, v10
	v_cmp_gt_u32_e64 s[0:1], 32, v5
	v_lshlrev_b32_e32 v5, 3, v14
	v_add_lshl_u32 v14, v5, v10, 2
	v_add_u32_e32 v8, 8, v10
	v_cmp_gt_u32_e64 s[2:3], s12, v8
	v_add_u32_e32 v9, 16, v10
	s_waitcnt vmcnt(0)
	v_and_b32_e32 v13, 0xffff, v1
	ds_bpermute_b32 v3, v3, v13
	s_waitcnt lgkmcnt(0)
	v_add_f16_e32 v3, v1, v3
	v_cndmask_b32_e64 v13, v13, v3, s[4:5]
	ds_bpermute_b32 v4, v11, v13
	v_cndmask_b32_e64 v15, v1, v3, s[4:5]
	v_cndmask_b32_e64 v11, 0, 1, vcc
	v_cmp_gt_u32_e32 vcc, s12, v6
	v_lshlrev_b32_e32 v11, 4, v11
	s_waitcnt lgkmcnt(0)
	v_add_f16_e32 v4, v4, v15
	v_cndmask_b32_e32 v6, v13, v4, vcc
	ds_bpermute_b32 v12, v12, v6
	v_cndmask_b32_e32 v15, v15, v4, vcc
	v_cndmask_b32_e64 v13, 0, 1, s[0:1]
	v_cmp_gt_u32_e64 s[0:1], s12, v7
	v_add_lshl_u32 v11, v11, v10, 2
	s_waitcnt lgkmcnt(0)
	v_add_f16_e32 v5, v12, v15
	v_cndmask_b32_e64 v7, v6, v5, s[0:1]
	ds_bpermute_b32 v6, v14, v7
	v_lshlrev_b32_e32 v12, 5, v13
	v_cndmask_b32_e64 v13, v15, v5, s[0:1]
	s_or_b64 s[4:5], s[4:5], vcc
	s_or_b64 s[4:5], s[0:1], s[4:5]
	s_waitcnt lgkmcnt(0)
	v_add_f16_e32 v6, v6, v13
	v_cndmask_b32_e64 v14, v7, v6, s[2:3]
	ds_bpermute_b32 v7, v11, v14
	v_cndmask_b32_e64 v8, v13, v6, s[2:3]
	s_or_b64 s[6:7], s[2:3], s[4:5]
	v_cmp_gt_u32_e64 s[4:5], s12, v9
	v_add_lshl_u32 v11, v12, v10, 2
	s_waitcnt lgkmcnt(0)
	v_add_f16_e32 v7, v7, v8
	v_cndmask_b32_e64 v9, v14, v7, s[4:5]
	ds_bpermute_b32 v9, v11, v9
	v_add_u32_e32 v10, 32, v10
	s_or_b64 s[8:9], s[4:5], s[6:7]
	v_cmp_gt_u32_e64 s[6:7], s12, v10
	s_or_b64 s[12:13], s[6:7], s[8:9]
	s_and_saveexec_b64 s[8:9], s[12:13]
	s_cbranch_execz .LBB95_2
; %bb.1:
	v_cndmask_b32_e32 v3, v3, v4, vcc
	v_cndmask_b32_e64 v3, v3, v5, s[0:1]
	v_cndmask_b32_e64 v1, v8, v7, s[4:5]
	;; [unrolled: 1-line block ×3, first 2 shown]
	s_waitcnt lgkmcnt(0)
	v_add_f16_e32 v1, v9, v1
	v_cndmask_b32_e64 v3, v3, v7, s[4:5]
	v_cndmask_b32_e64 v1, v3, v1, s[6:7]
.LBB95_2:
	s_or_b64 exec, exec, s[8:9]
	v_and_b32_e32 v0, 63, v0
	v_cmp_eq_u32_e32 vcc, 0, v0
	s_and_saveexec_b64 s[0:1], vcc
	s_cbranch_execz .LBB95_4
; %bb.3:
	v_lshrrev_b32_e32 v0, 5, v2
	v_and_b32_e32 v0, 0x7fffffe, v0
	global_store_short v0, v1, s[10:11]
.LBB95_4:
	s_endpgm
	.section	.rodata,"a",@progbits
	.p2align	6, 0x0
	.amdhsa_kernel _Z24warp_reduce_valid_kernelI6__halfLj256ELj64EENSt9enable_ifIXsr10test_utilsE35device_test_enabled_for_warp_size_vIXT1_EEEvE4typeEPT_S5_i
		.amdhsa_group_segment_fixed_size 0
		.amdhsa_private_segment_fixed_size 0
		.amdhsa_kernarg_size 280
		.amdhsa_user_sgpr_count 6
		.amdhsa_user_sgpr_private_segment_buffer 1
		.amdhsa_user_sgpr_dispatch_ptr 0
		.amdhsa_user_sgpr_queue_ptr 0
		.amdhsa_user_sgpr_kernarg_segment_ptr 1
		.amdhsa_user_sgpr_dispatch_id 0
		.amdhsa_user_sgpr_flat_scratch_init 0
		.amdhsa_user_sgpr_kernarg_preload_length 0
		.amdhsa_user_sgpr_kernarg_preload_offset 0
		.amdhsa_user_sgpr_private_segment_size 0
		.amdhsa_uses_dynamic_stack 0
		.amdhsa_system_sgpr_private_segment_wavefront_offset 0
		.amdhsa_system_sgpr_workgroup_id_x 1
		.amdhsa_system_sgpr_workgroup_id_y 0
		.amdhsa_system_sgpr_workgroup_id_z 0
		.amdhsa_system_sgpr_workgroup_info 0
		.amdhsa_system_vgpr_workitem_id 0
		.amdhsa_next_free_vgpr 16
		.amdhsa_next_free_sgpr 14
		.amdhsa_accum_offset 16
		.amdhsa_reserve_vcc 1
		.amdhsa_reserve_flat_scratch 0
		.amdhsa_float_round_mode_32 0
		.amdhsa_float_round_mode_16_64 0
		.amdhsa_float_denorm_mode_32 3
		.amdhsa_float_denorm_mode_16_64 3
		.amdhsa_dx10_clamp 1
		.amdhsa_ieee_mode 1
		.amdhsa_fp16_overflow 0
		.amdhsa_tg_split 0
		.amdhsa_exception_fp_ieee_invalid_op 0
		.amdhsa_exception_fp_denorm_src 0
		.amdhsa_exception_fp_ieee_div_zero 0
		.amdhsa_exception_fp_ieee_overflow 0
		.amdhsa_exception_fp_ieee_underflow 0
		.amdhsa_exception_fp_ieee_inexact 0
		.amdhsa_exception_int_div_zero 0
	.end_amdhsa_kernel
	.section	.text._Z24warp_reduce_valid_kernelI6__halfLj256ELj64EENSt9enable_ifIXsr10test_utilsE35device_test_enabled_for_warp_size_vIXT1_EEEvE4typeEPT_S5_i,"axG",@progbits,_Z24warp_reduce_valid_kernelI6__halfLj256ELj64EENSt9enable_ifIXsr10test_utilsE35device_test_enabled_for_warp_size_vIXT1_EEEvE4typeEPT_S5_i,comdat
.Lfunc_end95:
	.size	_Z24warp_reduce_valid_kernelI6__halfLj256ELj64EENSt9enable_ifIXsr10test_utilsE35device_test_enabled_for_warp_size_vIXT1_EEEvE4typeEPT_S5_i, .Lfunc_end95-_Z24warp_reduce_valid_kernelI6__halfLj256ELj64EENSt9enable_ifIXsr10test_utilsE35device_test_enabled_for_warp_size_vIXT1_EEEvE4typeEPT_S5_i
                                        ; -- End function
	.section	.AMDGPU.csdata,"",@progbits
; Kernel info:
; codeLenInByte = 588
; NumSgprs: 18
; NumVgprs: 16
; NumAgprs: 0
; TotalNumVgprs: 16
; ScratchSize: 0
; MemoryBound: 0
; FloatMode: 240
; IeeeMode: 1
; LDSByteSize: 0 bytes/workgroup (compile time only)
; SGPRBlocks: 2
; VGPRBlocks: 1
; NumSGPRsForWavesPerEU: 18
; NumVGPRsForWavesPerEU: 16
; AccumOffset: 16
; Occupancy: 8
; WaveLimiterHint : 0
; COMPUTE_PGM_RSRC2:SCRATCH_EN: 0
; COMPUTE_PGM_RSRC2:USER_SGPR: 6
; COMPUTE_PGM_RSRC2:TRAP_HANDLER: 0
; COMPUTE_PGM_RSRC2:TGID_X_EN: 1
; COMPUTE_PGM_RSRC2:TGID_Y_EN: 0
; COMPUTE_PGM_RSRC2:TGID_Z_EN: 0
; COMPUTE_PGM_RSRC2:TIDIG_COMP_CNT: 0
; COMPUTE_PGM_RSRC3_GFX90A:ACCUM_OFFSET: 3
; COMPUTE_PGM_RSRC3_GFX90A:TG_SPLIT: 0
	.section	.text._Z24warp_reduce_valid_kernelI6__halfLj128ELj32EENSt9enable_ifIXsr10test_utilsE35device_test_enabled_for_warp_size_vIXT1_EEEvE4typeEPT_S5_i,"axG",@progbits,_Z24warp_reduce_valid_kernelI6__halfLj128ELj32EENSt9enable_ifIXsr10test_utilsE35device_test_enabled_for_warp_size_vIXT1_EEEvE4typeEPT_S5_i,comdat
	.protected	_Z24warp_reduce_valid_kernelI6__halfLj128ELj32EENSt9enable_ifIXsr10test_utilsE35device_test_enabled_for_warp_size_vIXT1_EEEvE4typeEPT_S5_i ; -- Begin function _Z24warp_reduce_valid_kernelI6__halfLj128ELj32EENSt9enable_ifIXsr10test_utilsE35device_test_enabled_for_warp_size_vIXT1_EEEvE4typeEPT_S5_i
	.globl	_Z24warp_reduce_valid_kernelI6__halfLj128ELj32EENSt9enable_ifIXsr10test_utilsE35device_test_enabled_for_warp_size_vIXT1_EEEvE4typeEPT_S5_i
	.p2align	8
	.type	_Z24warp_reduce_valid_kernelI6__halfLj128ELj32EENSt9enable_ifIXsr10test_utilsE35device_test_enabled_for_warp_size_vIXT1_EEEvE4typeEPT_S5_i,@function
_Z24warp_reduce_valid_kernelI6__halfLj128ELj32EENSt9enable_ifIXsr10test_utilsE35device_test_enabled_for_warp_size_vIXT1_EEEvE4typeEPT_S5_i: ; @_Z24warp_reduce_valid_kernelI6__halfLj128ELj32EENSt9enable_ifIXsr10test_utilsE35device_test_enabled_for_warp_size_vIXT1_EEEvE4typeEPT_S5_i
; %bb.0:
	s_load_dword s0, s[4:5], 0x24
	s_load_dwordx4 s[8:11], s[4:5], 0x0
	s_load_dword s12, s[4:5], 0x10
	v_mov_b32_e32 v3, 0
	s_waitcnt lgkmcnt(0)
	s_and_b32 s0, s0, 0xffff
	s_mul_i32 s6, s6, s0
	v_add_u32_e32 v2, s6, v0
	v_lshlrev_b64 v[4:5], 1, v[2:3]
	v_mov_b32_e32 v1, s9
	v_add_co_u32_e32 v4, vcc, s8, v4
	v_addc_co_u32_e32 v5, vcc, v1, v5, vcc
	global_load_ushort v1, v[4:5], off
	v_mbcnt_lo_u32_b32 v3, -1, 0
	v_mbcnt_hi_u32_b32 v9, -1, v3
	v_and_b32_e32 v3, 31, v9
	v_cmp_ne_u32_e32 vcc, 31, v3
	v_addc_co_u32_e32 v4, vcc, 0, v9, vcc
	v_lshlrev_b32_e32 v4, 2, v4
	v_cmp_gt_u32_e32 vcc, 30, v3
	v_add_u32_e32 v5, 1, v3
	v_cndmask_b32_e64 v7, 0, 1, vcc
	v_lshlrev_b32_e32 v7, 1, v7
	v_cmp_gt_u32_e64 s[4:5], s12, v5
	v_add_lshl_u32 v7, v7, v9, 2
	v_cmp_gt_u32_e32 vcc, 28, v3
	v_cndmask_b32_e64 v11, 0, 1, vcc
	v_add_u32_e32 v6, 2, v3
	v_cmp_gt_u32_e32 vcc, s12, v6
	v_cmp_gt_u32_e64 s[0:1], 24, v3
	v_add_u32_e32 v8, 4, v3
	v_cmp_gt_u32_e64 s[2:3], 16, v3
	v_add_u32_e32 v12, 8, v3
	s_waitcnt vmcnt(0)
	v_and_b32_e32 v10, 0xffff, v1
	ds_bpermute_b32 v4, v4, v10
	s_waitcnt lgkmcnt(0)
	v_add_f16_e32 v4, v1, v4
	v_cndmask_b32_e64 v10, v10, v4, s[4:5]
	ds_bpermute_b32 v5, v7, v10
	v_lshlrev_b32_e32 v7, 2, v11
	v_cndmask_b32_e64 v11, v1, v4, s[4:5]
	v_add_lshl_u32 v7, v7, v9, 2
	s_waitcnt lgkmcnt(0)
	v_add_f16_e32 v5, v5, v11
	v_cndmask_b32_e32 v10, v10, v5, vcc
	ds_bpermute_b32 v6, v7, v10
	v_cndmask_b32_e64 v7, 0, 1, s[0:1]
	v_cndmask_b32_e32 v11, v11, v5, vcc
	v_lshlrev_b32_e32 v7, 3, v7
	v_cmp_gt_u32_e64 s[0:1], s12, v8
	s_waitcnt lgkmcnt(0)
	v_add_f16_e32 v6, v6, v11
	v_add_lshl_u32 v7, v7, v9, 2
	v_cndmask_b32_e64 v10, v10, v6, s[0:1]
	ds_bpermute_b32 v7, v7, v10
	v_cndmask_b32_e64 v8, 0, 1, s[2:3]
	v_lshlrev_b32_e32 v13, 4, v8
	v_cndmask_b32_e64 v8, v11, v6, s[0:1]
	v_cmp_gt_u32_e64 s[2:3], s12, v12
	s_waitcnt lgkmcnt(0)
	v_add_f16_e32 v7, v7, v8
	v_cndmask_b32_e64 v10, v10, v7, s[2:3]
	v_add_lshl_u32 v9, v13, v9, 2
	ds_bpermute_b32 v9, v9, v10
	s_and_saveexec_b64 s[6:7], s[4:5]
	s_cbranch_execz .LBB96_2
; %bb.1:
	v_cndmask_b32_e32 v4, v4, v5, vcc
	v_add_u32_e32 v1, 16, v3
	v_cndmask_b32_e64 v3, v8, v7, s[2:3]
	v_cndmask_b32_e64 v4, v4, v6, s[0:1]
	s_waitcnt lgkmcnt(0)
	v_add_f16_e32 v3, v9, v3
	v_cndmask_b32_e64 v4, v4, v7, s[2:3]
	v_cmp_gt_u32_e32 vcc, s12, v1
	v_cndmask_b32_e32 v1, v4, v3, vcc
.LBB96_2:
	s_or_b64 exec, exec, s[6:7]
	v_and_b32_e32 v0, 31, v0
	v_cmp_eq_u32_e32 vcc, 0, v0
	s_and_saveexec_b64 s[0:1], vcc
	s_cbranch_execz .LBB96_4
; %bb.3:
	v_lshrrev_b32_e32 v0, 4, v2
	v_and_b32_e32 v0, 0xffffffe, v0
	global_store_short v0, v1, s[10:11]
.LBB96_4:
	s_endpgm
	.section	.rodata,"a",@progbits
	.p2align	6, 0x0
	.amdhsa_kernel _Z24warp_reduce_valid_kernelI6__halfLj128ELj32EENSt9enable_ifIXsr10test_utilsE35device_test_enabled_for_warp_size_vIXT1_EEEvE4typeEPT_S5_i
		.amdhsa_group_segment_fixed_size 0
		.amdhsa_private_segment_fixed_size 0
		.amdhsa_kernarg_size 280
		.amdhsa_user_sgpr_count 6
		.amdhsa_user_sgpr_private_segment_buffer 1
		.amdhsa_user_sgpr_dispatch_ptr 0
		.amdhsa_user_sgpr_queue_ptr 0
		.amdhsa_user_sgpr_kernarg_segment_ptr 1
		.amdhsa_user_sgpr_dispatch_id 0
		.amdhsa_user_sgpr_flat_scratch_init 0
		.amdhsa_user_sgpr_kernarg_preload_length 0
		.amdhsa_user_sgpr_kernarg_preload_offset 0
		.amdhsa_user_sgpr_private_segment_size 0
		.amdhsa_uses_dynamic_stack 0
		.amdhsa_system_sgpr_private_segment_wavefront_offset 0
		.amdhsa_system_sgpr_workgroup_id_x 1
		.amdhsa_system_sgpr_workgroup_id_y 0
		.amdhsa_system_sgpr_workgroup_id_z 0
		.amdhsa_system_sgpr_workgroup_info 0
		.amdhsa_system_vgpr_workitem_id 0
		.amdhsa_next_free_vgpr 14
		.amdhsa_next_free_sgpr 13
		.amdhsa_accum_offset 16
		.amdhsa_reserve_vcc 1
		.amdhsa_reserve_flat_scratch 0
		.amdhsa_float_round_mode_32 0
		.amdhsa_float_round_mode_16_64 0
		.amdhsa_float_denorm_mode_32 3
		.amdhsa_float_denorm_mode_16_64 3
		.amdhsa_dx10_clamp 1
		.amdhsa_ieee_mode 1
		.amdhsa_fp16_overflow 0
		.amdhsa_tg_split 0
		.amdhsa_exception_fp_ieee_invalid_op 0
		.amdhsa_exception_fp_denorm_src 0
		.amdhsa_exception_fp_ieee_div_zero 0
		.amdhsa_exception_fp_ieee_overflow 0
		.amdhsa_exception_fp_ieee_underflow 0
		.amdhsa_exception_fp_ieee_inexact 0
		.amdhsa_exception_int_div_zero 0
	.end_amdhsa_kernel
	.section	.text._Z24warp_reduce_valid_kernelI6__halfLj128ELj32EENSt9enable_ifIXsr10test_utilsE35device_test_enabled_for_warp_size_vIXT1_EEEvE4typeEPT_S5_i,"axG",@progbits,_Z24warp_reduce_valid_kernelI6__halfLj128ELj32EENSt9enable_ifIXsr10test_utilsE35device_test_enabled_for_warp_size_vIXT1_EEEvE4typeEPT_S5_i,comdat
.Lfunc_end96:
	.size	_Z24warp_reduce_valid_kernelI6__halfLj128ELj32EENSt9enable_ifIXsr10test_utilsE35device_test_enabled_for_warp_size_vIXT1_EEEvE4typeEPT_S5_i, .Lfunc_end96-_Z24warp_reduce_valid_kernelI6__halfLj128ELj32EENSt9enable_ifIXsr10test_utilsE35device_test_enabled_for_warp_size_vIXT1_EEEvE4typeEPT_S5_i
                                        ; -- End function
	.section	.AMDGPU.csdata,"",@progbits
; Kernel info:
; codeLenInByte = 488
; NumSgprs: 17
; NumVgprs: 14
; NumAgprs: 0
; TotalNumVgprs: 14
; ScratchSize: 0
; MemoryBound: 0
; FloatMode: 240
; IeeeMode: 1
; LDSByteSize: 0 bytes/workgroup (compile time only)
; SGPRBlocks: 2
; VGPRBlocks: 1
; NumSGPRsForWavesPerEU: 17
; NumVGPRsForWavesPerEU: 14
; AccumOffset: 16
; Occupancy: 8
; WaveLimiterHint : 0
; COMPUTE_PGM_RSRC2:SCRATCH_EN: 0
; COMPUTE_PGM_RSRC2:USER_SGPR: 6
; COMPUTE_PGM_RSRC2:TRAP_HANDLER: 0
; COMPUTE_PGM_RSRC2:TGID_X_EN: 1
; COMPUTE_PGM_RSRC2:TGID_Y_EN: 0
; COMPUTE_PGM_RSRC2:TGID_Z_EN: 0
; COMPUTE_PGM_RSRC2:TIDIG_COMP_CNT: 0
; COMPUTE_PGM_RSRC3_GFX90A:ACCUM_OFFSET: 3
; COMPUTE_PGM_RSRC3_GFX90A:TG_SPLIT: 0
	.section	.text._Z24warp_reduce_valid_kernelI6__halfLj64ELj16EENSt9enable_ifIXsr10test_utilsE35device_test_enabled_for_warp_size_vIXT1_EEEvE4typeEPT_S5_i,"axG",@progbits,_Z24warp_reduce_valid_kernelI6__halfLj64ELj16EENSt9enable_ifIXsr10test_utilsE35device_test_enabled_for_warp_size_vIXT1_EEEvE4typeEPT_S5_i,comdat
	.protected	_Z24warp_reduce_valid_kernelI6__halfLj64ELj16EENSt9enable_ifIXsr10test_utilsE35device_test_enabled_for_warp_size_vIXT1_EEEvE4typeEPT_S5_i ; -- Begin function _Z24warp_reduce_valid_kernelI6__halfLj64ELj16EENSt9enable_ifIXsr10test_utilsE35device_test_enabled_for_warp_size_vIXT1_EEEvE4typeEPT_S5_i
	.globl	_Z24warp_reduce_valid_kernelI6__halfLj64ELj16EENSt9enable_ifIXsr10test_utilsE35device_test_enabled_for_warp_size_vIXT1_EEEvE4typeEPT_S5_i
	.p2align	8
	.type	_Z24warp_reduce_valid_kernelI6__halfLj64ELj16EENSt9enable_ifIXsr10test_utilsE35device_test_enabled_for_warp_size_vIXT1_EEEvE4typeEPT_S5_i,@function
_Z24warp_reduce_valid_kernelI6__halfLj64ELj16EENSt9enable_ifIXsr10test_utilsE35device_test_enabled_for_warp_size_vIXT1_EEEvE4typeEPT_S5_i: ; @_Z24warp_reduce_valid_kernelI6__halfLj64ELj16EENSt9enable_ifIXsr10test_utilsE35device_test_enabled_for_warp_size_vIXT1_EEEvE4typeEPT_S5_i
; %bb.0:
	s_load_dword s0, s[4:5], 0x24
	s_load_dwordx4 s[8:11], s[4:5], 0x0
	s_load_dword s7, s[4:5], 0x10
	v_mov_b32_e32 v3, 0
	s_waitcnt lgkmcnt(0)
	s_and_b32 s0, s0, 0xffff
	s_mul_i32 s6, s6, s0
	v_add_u32_e32 v2, s6, v0
	v_lshlrev_b64 v[4:5], 1, v[2:3]
	v_mov_b32_e32 v1, s9
	v_add_co_u32_e32 v4, vcc, s8, v4
	v_addc_co_u32_e32 v5, vcc, v1, v5, vcc
	global_load_ushort v1, v[4:5], off
	v_mbcnt_lo_u32_b32 v3, -1, 0
	v_mbcnt_hi_u32_b32 v8, -1, v3
	v_and_b32_e32 v3, 15, v8
	v_cmp_ne_u32_e32 vcc, 15, v3
	v_addc_co_u32_e32 v4, vcc, 0, v8, vcc
	v_lshlrev_b32_e32 v4, 2, v4
	v_cmp_gt_u32_e32 vcc, 14, v3
	v_add_u32_e32 v5, 1, v3
	v_cndmask_b32_e64 v9, 0, 1, vcc
	v_lshlrev_b32_e32 v9, 1, v9
	v_cmp_gt_u32_e64 s[2:3], s7, v5
	v_add_lshl_u32 v9, v9, v8, 2
	v_cmp_gt_u32_e32 vcc, 12, v3
	v_add_u32_e32 v6, 2, v3
	v_cmp_gt_u32_e64 s[0:1], 8, v3
	v_add_u32_e32 v10, 4, v3
	s_waitcnt vmcnt(0)
	v_and_b32_e32 v7, 0xffff, v1
	ds_bpermute_b32 v4, v4, v7
	s_waitcnt lgkmcnt(0)
	v_add_f16_e32 v4, v1, v4
	v_cndmask_b32_e64 v7, v7, v4, s[2:3]
	ds_bpermute_b32 v5, v9, v7
	v_cndmask_b32_e64 v9, 0, 1, vcc
	v_cndmask_b32_e64 v11, v1, v4, s[2:3]
	v_lshlrev_b32_e32 v9, 2, v9
	v_cmp_gt_u32_e32 vcc, s7, v6
	s_waitcnt lgkmcnt(0)
	v_add_f16_e32 v5, v5, v11
	v_add_lshl_u32 v9, v9, v8, 2
	v_cndmask_b32_e32 v12, v7, v5, vcc
	ds_bpermute_b32 v6, v9, v12
	v_cndmask_b32_e64 v7, 0, 1, s[0:1]
	v_lshlrev_b32_e32 v9, 3, v7
	v_cndmask_b32_e32 v7, v11, v5, vcc
	v_cmp_gt_u32_e64 s[0:1], s7, v10
	s_waitcnt lgkmcnt(0)
	v_add_f16_e32 v6, v6, v7
	v_cndmask_b32_e64 v10, v12, v6, s[0:1]
	v_add_lshl_u32 v8, v9, v8, 2
	ds_bpermute_b32 v8, v8, v10
	s_and_saveexec_b64 s[4:5], s[2:3]
	s_cbranch_execz .LBB97_2
; %bb.1:
	v_add_u32_e32 v1, 8, v3
	v_cndmask_b32_e64 v3, v7, v6, s[0:1]
	v_cndmask_b32_e32 v4, v4, v5, vcc
	s_waitcnt lgkmcnt(0)
	v_add_f16_e32 v3, v8, v3
	v_cndmask_b32_e64 v4, v4, v6, s[0:1]
	v_cmp_gt_u32_e32 vcc, s7, v1
	v_cndmask_b32_e32 v1, v4, v3, vcc
.LBB97_2:
	s_or_b64 exec, exec, s[4:5]
	v_and_b32_e32 v0, 15, v0
	v_cmp_eq_u32_e32 vcc, 0, v0
	s_and_saveexec_b64 s[0:1], vcc
	s_cbranch_execz .LBB97_4
; %bb.3:
	v_lshrrev_b32_e32 v0, 3, v2
	v_and_b32_e32 v0, 0x1ffffffe, v0
	global_store_short v0, v1, s[10:11]
.LBB97_4:
	s_endpgm
	.section	.rodata,"a",@progbits
	.p2align	6, 0x0
	.amdhsa_kernel _Z24warp_reduce_valid_kernelI6__halfLj64ELj16EENSt9enable_ifIXsr10test_utilsE35device_test_enabled_for_warp_size_vIXT1_EEEvE4typeEPT_S5_i
		.amdhsa_group_segment_fixed_size 0
		.amdhsa_private_segment_fixed_size 0
		.amdhsa_kernarg_size 280
		.amdhsa_user_sgpr_count 6
		.amdhsa_user_sgpr_private_segment_buffer 1
		.amdhsa_user_sgpr_dispatch_ptr 0
		.amdhsa_user_sgpr_queue_ptr 0
		.amdhsa_user_sgpr_kernarg_segment_ptr 1
		.amdhsa_user_sgpr_dispatch_id 0
		.amdhsa_user_sgpr_flat_scratch_init 0
		.amdhsa_user_sgpr_kernarg_preload_length 0
		.amdhsa_user_sgpr_kernarg_preload_offset 0
		.amdhsa_user_sgpr_private_segment_size 0
		.amdhsa_uses_dynamic_stack 0
		.amdhsa_system_sgpr_private_segment_wavefront_offset 0
		.amdhsa_system_sgpr_workgroup_id_x 1
		.amdhsa_system_sgpr_workgroup_id_y 0
		.amdhsa_system_sgpr_workgroup_id_z 0
		.amdhsa_system_sgpr_workgroup_info 0
		.amdhsa_system_vgpr_workitem_id 0
		.amdhsa_next_free_vgpr 13
		.amdhsa_next_free_sgpr 12
		.amdhsa_accum_offset 16
		.amdhsa_reserve_vcc 1
		.amdhsa_reserve_flat_scratch 0
		.amdhsa_float_round_mode_32 0
		.amdhsa_float_round_mode_16_64 0
		.amdhsa_float_denorm_mode_32 3
		.amdhsa_float_denorm_mode_16_64 3
		.amdhsa_dx10_clamp 1
		.amdhsa_ieee_mode 1
		.amdhsa_fp16_overflow 0
		.amdhsa_tg_split 0
		.amdhsa_exception_fp_ieee_invalid_op 0
		.amdhsa_exception_fp_denorm_src 0
		.amdhsa_exception_fp_ieee_div_zero 0
		.amdhsa_exception_fp_ieee_overflow 0
		.amdhsa_exception_fp_ieee_underflow 0
		.amdhsa_exception_fp_ieee_inexact 0
		.amdhsa_exception_int_div_zero 0
	.end_amdhsa_kernel
	.section	.text._Z24warp_reduce_valid_kernelI6__halfLj64ELj16EENSt9enable_ifIXsr10test_utilsE35device_test_enabled_for_warp_size_vIXT1_EEEvE4typeEPT_S5_i,"axG",@progbits,_Z24warp_reduce_valid_kernelI6__halfLj64ELj16EENSt9enable_ifIXsr10test_utilsE35device_test_enabled_for_warp_size_vIXT1_EEEvE4typeEPT_S5_i,comdat
.Lfunc_end97:
	.size	_Z24warp_reduce_valid_kernelI6__halfLj64ELj16EENSt9enable_ifIXsr10test_utilsE35device_test_enabled_for_warp_size_vIXT1_EEEvE4typeEPT_S5_i, .Lfunc_end97-_Z24warp_reduce_valid_kernelI6__halfLj64ELj16EENSt9enable_ifIXsr10test_utilsE35device_test_enabled_for_warp_size_vIXT1_EEEvE4typeEPT_S5_i
                                        ; -- End function
	.section	.AMDGPU.csdata,"",@progbits
; Kernel info:
; codeLenInByte = 408
; NumSgprs: 16
; NumVgprs: 13
; NumAgprs: 0
; TotalNumVgprs: 13
; ScratchSize: 0
; MemoryBound: 0
; FloatMode: 240
; IeeeMode: 1
; LDSByteSize: 0 bytes/workgroup (compile time only)
; SGPRBlocks: 1
; VGPRBlocks: 1
; NumSGPRsForWavesPerEU: 16
; NumVGPRsForWavesPerEU: 13
; AccumOffset: 16
; Occupancy: 8
; WaveLimiterHint : 0
; COMPUTE_PGM_RSRC2:SCRATCH_EN: 0
; COMPUTE_PGM_RSRC2:USER_SGPR: 6
; COMPUTE_PGM_RSRC2:TRAP_HANDLER: 0
; COMPUTE_PGM_RSRC2:TGID_X_EN: 1
; COMPUTE_PGM_RSRC2:TGID_Y_EN: 0
; COMPUTE_PGM_RSRC2:TGID_Z_EN: 0
; COMPUTE_PGM_RSRC2:TIDIG_COMP_CNT: 0
; COMPUTE_PGM_RSRC3_GFX90A:ACCUM_OFFSET: 3
; COMPUTE_PGM_RSRC3_GFX90A:TG_SPLIT: 0
	.section	.text._Z24warp_reduce_valid_kernelI6__halfLj32ELj8EENSt9enable_ifIXsr10test_utilsE35device_test_enabled_for_warp_size_vIXT1_EEEvE4typeEPT_S5_i,"axG",@progbits,_Z24warp_reduce_valid_kernelI6__halfLj32ELj8EENSt9enable_ifIXsr10test_utilsE35device_test_enabled_for_warp_size_vIXT1_EEEvE4typeEPT_S5_i,comdat
	.protected	_Z24warp_reduce_valid_kernelI6__halfLj32ELj8EENSt9enable_ifIXsr10test_utilsE35device_test_enabled_for_warp_size_vIXT1_EEEvE4typeEPT_S5_i ; -- Begin function _Z24warp_reduce_valid_kernelI6__halfLj32ELj8EENSt9enable_ifIXsr10test_utilsE35device_test_enabled_for_warp_size_vIXT1_EEEvE4typeEPT_S5_i
	.globl	_Z24warp_reduce_valid_kernelI6__halfLj32ELj8EENSt9enable_ifIXsr10test_utilsE35device_test_enabled_for_warp_size_vIXT1_EEEvE4typeEPT_S5_i
	.p2align	8
	.type	_Z24warp_reduce_valid_kernelI6__halfLj32ELj8EENSt9enable_ifIXsr10test_utilsE35device_test_enabled_for_warp_size_vIXT1_EEEvE4typeEPT_S5_i,@function
_Z24warp_reduce_valid_kernelI6__halfLj32ELj8EENSt9enable_ifIXsr10test_utilsE35device_test_enabled_for_warp_size_vIXT1_EEEvE4typeEPT_S5_i: ; @_Z24warp_reduce_valid_kernelI6__halfLj32ELj8EENSt9enable_ifIXsr10test_utilsE35device_test_enabled_for_warp_size_vIXT1_EEEvE4typeEPT_S5_i
; %bb.0:
	s_load_dword s8, s[4:5], 0x24
	s_load_dwordx4 s[0:3], s[4:5], 0x0
	s_load_dword s7, s[4:5], 0x10
	v_mov_b32_e32 v3, 0
	s_waitcnt lgkmcnt(0)
	s_and_b32 s4, s8, 0xffff
	s_mul_i32 s6, s6, s4
	v_add_u32_e32 v2, s6, v0
	v_lshlrev_b64 v[4:5], 1, v[2:3]
	v_mov_b32_e32 v1, s1
	v_add_co_u32_e32 v4, vcc, s0, v4
	v_addc_co_u32_e32 v5, vcc, v1, v5, vcc
	global_load_ushort v1, v[4:5], off
	v_mbcnt_lo_u32_b32 v3, -1, 0
	v_mbcnt_hi_u32_b32 v6, -1, v3
	v_and_b32_e32 v3, 7, v6
	v_cmp_ne_u32_e32 vcc, 7, v3
	v_addc_co_u32_e32 v4, vcc, 0, v6, vcc
	v_lshlrev_b32_e32 v4, 2, v4
	v_cmp_gt_u32_e32 vcc, 6, v3
	v_add_u32_e32 v5, 1, v3
	v_cndmask_b32_e64 v9, 0, 1, vcc
	v_lshlrev_b32_e32 v9, 1, v9
	v_cmp_gt_u32_e64 s[0:1], s7, v5
	v_add_lshl_u32 v9, v9, v6, 2
	v_cmp_gt_u32_e32 vcc, 4, v3
	v_add_u32_e32 v7, 2, v3
	s_waitcnt vmcnt(0)
	v_and_b32_e32 v8, 0xffff, v1
	ds_bpermute_b32 v4, v4, v8
	s_waitcnt lgkmcnt(0)
	v_add_f16_e32 v4, v1, v4
	v_cndmask_b32_e64 v8, v8, v4, s[0:1]
	ds_bpermute_b32 v5, v9, v8
	v_cndmask_b32_e64 v9, 0, 1, vcc
	v_cndmask_b32_e64 v10, v1, v4, s[0:1]
	v_lshlrev_b32_e32 v9, 2, v9
	v_cmp_gt_u32_e32 vcc, s7, v7
	s_waitcnt lgkmcnt(0)
	v_add_f16_e32 v5, v5, v10
	v_cndmask_b32_e32 v7, v8, v5, vcc
	v_add_lshl_u32 v6, v9, v6, 2
	ds_bpermute_b32 v6, v6, v7
	s_and_saveexec_b64 s[4:5], s[0:1]
	s_cbranch_execz .LBB98_2
; %bb.1:
	v_add_u32_e32 v1, 4, v3
	v_cndmask_b32_e32 v3, v4, v5, vcc
	s_waitcnt lgkmcnt(0)
	v_add_f16_e32 v4, v6, v3
	v_cmp_gt_u32_e32 vcc, s7, v1
	v_cndmask_b32_e32 v1, v3, v4, vcc
.LBB98_2:
	s_or_b64 exec, exec, s[4:5]
	v_and_b32_e32 v0, 7, v0
	v_cmp_eq_u32_e32 vcc, 0, v0
	s_and_saveexec_b64 s[0:1], vcc
	s_cbranch_execz .LBB98_4
; %bb.3:
	v_lshrrev_b32_e32 v0, 2, v2
	v_and_b32_e32 v0, 0x3ffffffe, v0
	global_store_short v0, v1, s[2:3]
.LBB98_4:
	s_endpgm
	.section	.rodata,"a",@progbits
	.p2align	6, 0x0
	.amdhsa_kernel _Z24warp_reduce_valid_kernelI6__halfLj32ELj8EENSt9enable_ifIXsr10test_utilsE35device_test_enabled_for_warp_size_vIXT1_EEEvE4typeEPT_S5_i
		.amdhsa_group_segment_fixed_size 0
		.amdhsa_private_segment_fixed_size 0
		.amdhsa_kernarg_size 280
		.amdhsa_user_sgpr_count 6
		.amdhsa_user_sgpr_private_segment_buffer 1
		.amdhsa_user_sgpr_dispatch_ptr 0
		.amdhsa_user_sgpr_queue_ptr 0
		.amdhsa_user_sgpr_kernarg_segment_ptr 1
		.amdhsa_user_sgpr_dispatch_id 0
		.amdhsa_user_sgpr_flat_scratch_init 0
		.amdhsa_user_sgpr_kernarg_preload_length 0
		.amdhsa_user_sgpr_kernarg_preload_offset 0
		.amdhsa_user_sgpr_private_segment_size 0
		.amdhsa_uses_dynamic_stack 0
		.amdhsa_system_sgpr_private_segment_wavefront_offset 0
		.amdhsa_system_sgpr_workgroup_id_x 1
		.amdhsa_system_sgpr_workgroup_id_y 0
		.amdhsa_system_sgpr_workgroup_id_z 0
		.amdhsa_system_sgpr_workgroup_info 0
		.amdhsa_system_vgpr_workitem_id 0
		.amdhsa_next_free_vgpr 11
		.amdhsa_next_free_sgpr 9
		.amdhsa_accum_offset 12
		.amdhsa_reserve_vcc 1
		.amdhsa_reserve_flat_scratch 0
		.amdhsa_float_round_mode_32 0
		.amdhsa_float_round_mode_16_64 0
		.amdhsa_float_denorm_mode_32 3
		.amdhsa_float_denorm_mode_16_64 3
		.amdhsa_dx10_clamp 1
		.amdhsa_ieee_mode 1
		.amdhsa_fp16_overflow 0
		.amdhsa_tg_split 0
		.amdhsa_exception_fp_ieee_invalid_op 0
		.amdhsa_exception_fp_denorm_src 0
		.amdhsa_exception_fp_ieee_div_zero 0
		.amdhsa_exception_fp_ieee_overflow 0
		.amdhsa_exception_fp_ieee_underflow 0
		.amdhsa_exception_fp_ieee_inexact 0
		.amdhsa_exception_int_div_zero 0
	.end_amdhsa_kernel
	.section	.text._Z24warp_reduce_valid_kernelI6__halfLj32ELj8EENSt9enable_ifIXsr10test_utilsE35device_test_enabled_for_warp_size_vIXT1_EEEvE4typeEPT_S5_i,"axG",@progbits,_Z24warp_reduce_valid_kernelI6__halfLj32ELj8EENSt9enable_ifIXsr10test_utilsE35device_test_enabled_for_warp_size_vIXT1_EEEvE4typeEPT_S5_i,comdat
.Lfunc_end98:
	.size	_Z24warp_reduce_valid_kernelI6__halfLj32ELj8EENSt9enable_ifIXsr10test_utilsE35device_test_enabled_for_warp_size_vIXT1_EEEvE4typeEPT_S5_i, .Lfunc_end98-_Z24warp_reduce_valid_kernelI6__halfLj32ELj8EENSt9enable_ifIXsr10test_utilsE35device_test_enabled_for_warp_size_vIXT1_EEEvE4typeEPT_S5_i
                                        ; -- End function
	.section	.AMDGPU.csdata,"",@progbits
; Kernel info:
; codeLenInByte = 324
; NumSgprs: 13
; NumVgprs: 11
; NumAgprs: 0
; TotalNumVgprs: 11
; ScratchSize: 0
; MemoryBound: 0
; FloatMode: 240
; IeeeMode: 1
; LDSByteSize: 0 bytes/workgroup (compile time only)
; SGPRBlocks: 1
; VGPRBlocks: 1
; NumSGPRsForWavesPerEU: 13
; NumVGPRsForWavesPerEU: 11
; AccumOffset: 12
; Occupancy: 8
; WaveLimiterHint : 0
; COMPUTE_PGM_RSRC2:SCRATCH_EN: 0
; COMPUTE_PGM_RSRC2:USER_SGPR: 6
; COMPUTE_PGM_RSRC2:TRAP_HANDLER: 0
; COMPUTE_PGM_RSRC2:TGID_X_EN: 1
; COMPUTE_PGM_RSRC2:TGID_Y_EN: 0
; COMPUTE_PGM_RSRC2:TGID_Z_EN: 0
; COMPUTE_PGM_RSRC2:TIDIG_COMP_CNT: 0
; COMPUTE_PGM_RSRC3_GFX90A:ACCUM_OFFSET: 2
; COMPUTE_PGM_RSRC3_GFX90A:TG_SPLIT: 0
	.section	.text._Z24warp_reduce_valid_kernelI6__halfLj64ELj8EENSt9enable_ifIXsr10test_utilsE35device_test_enabled_for_warp_size_vIXT1_EEEvE4typeEPT_S5_i,"axG",@progbits,_Z24warp_reduce_valid_kernelI6__halfLj64ELj8EENSt9enable_ifIXsr10test_utilsE35device_test_enabled_for_warp_size_vIXT1_EEEvE4typeEPT_S5_i,comdat
	.protected	_Z24warp_reduce_valid_kernelI6__halfLj64ELj8EENSt9enable_ifIXsr10test_utilsE35device_test_enabled_for_warp_size_vIXT1_EEEvE4typeEPT_S5_i ; -- Begin function _Z24warp_reduce_valid_kernelI6__halfLj64ELj8EENSt9enable_ifIXsr10test_utilsE35device_test_enabled_for_warp_size_vIXT1_EEEvE4typeEPT_S5_i
	.globl	_Z24warp_reduce_valid_kernelI6__halfLj64ELj8EENSt9enable_ifIXsr10test_utilsE35device_test_enabled_for_warp_size_vIXT1_EEEvE4typeEPT_S5_i
	.p2align	8
	.type	_Z24warp_reduce_valid_kernelI6__halfLj64ELj8EENSt9enable_ifIXsr10test_utilsE35device_test_enabled_for_warp_size_vIXT1_EEEvE4typeEPT_S5_i,@function
_Z24warp_reduce_valid_kernelI6__halfLj64ELj8EENSt9enable_ifIXsr10test_utilsE35device_test_enabled_for_warp_size_vIXT1_EEEvE4typeEPT_S5_i: ; @_Z24warp_reduce_valid_kernelI6__halfLj64ELj8EENSt9enable_ifIXsr10test_utilsE35device_test_enabled_for_warp_size_vIXT1_EEEvE4typeEPT_S5_i
; %bb.0:
	s_load_dword s8, s[4:5], 0x24
	s_load_dwordx4 s[0:3], s[4:5], 0x0
	s_load_dword s7, s[4:5], 0x10
	v_mov_b32_e32 v3, 0
	s_waitcnt lgkmcnt(0)
	s_and_b32 s4, s8, 0xffff
	s_mul_i32 s6, s6, s4
	v_add_u32_e32 v2, s6, v0
	v_lshlrev_b64 v[4:5], 1, v[2:3]
	v_mov_b32_e32 v1, s1
	v_add_co_u32_e32 v4, vcc, s0, v4
	v_addc_co_u32_e32 v5, vcc, v1, v5, vcc
	global_load_ushort v1, v[4:5], off
	v_mbcnt_lo_u32_b32 v3, -1, 0
	v_mbcnt_hi_u32_b32 v6, -1, v3
	v_and_b32_e32 v3, 7, v6
	v_cmp_ne_u32_e32 vcc, 7, v3
	v_addc_co_u32_e32 v4, vcc, 0, v6, vcc
	v_lshlrev_b32_e32 v4, 2, v4
	v_cmp_gt_u32_e32 vcc, 6, v3
	v_add_u32_e32 v5, 1, v3
	v_cndmask_b32_e64 v9, 0, 1, vcc
	v_lshlrev_b32_e32 v9, 1, v9
	v_cmp_gt_u32_e64 s[0:1], s7, v5
	v_add_lshl_u32 v9, v9, v6, 2
	v_cmp_gt_u32_e32 vcc, 4, v3
	v_add_u32_e32 v7, 2, v3
	s_waitcnt vmcnt(0)
	v_and_b32_e32 v8, 0xffff, v1
	ds_bpermute_b32 v4, v4, v8
	s_waitcnt lgkmcnt(0)
	v_add_f16_e32 v4, v1, v4
	v_cndmask_b32_e64 v8, v8, v4, s[0:1]
	ds_bpermute_b32 v5, v9, v8
	v_cndmask_b32_e64 v9, 0, 1, vcc
	v_cndmask_b32_e64 v10, v1, v4, s[0:1]
	v_lshlrev_b32_e32 v9, 2, v9
	v_cmp_gt_u32_e32 vcc, s7, v7
	s_waitcnt lgkmcnt(0)
	v_add_f16_e32 v5, v5, v10
	v_cndmask_b32_e32 v7, v8, v5, vcc
	v_add_lshl_u32 v6, v9, v6, 2
	ds_bpermute_b32 v6, v6, v7
	s_and_saveexec_b64 s[4:5], s[0:1]
	s_cbranch_execz .LBB99_2
; %bb.1:
	v_add_u32_e32 v1, 4, v3
	v_cndmask_b32_e32 v3, v4, v5, vcc
	s_waitcnt lgkmcnt(0)
	v_add_f16_e32 v4, v6, v3
	v_cmp_gt_u32_e32 vcc, s7, v1
	v_cndmask_b32_e32 v1, v3, v4, vcc
.LBB99_2:
	s_or_b64 exec, exec, s[4:5]
	v_and_b32_e32 v0, 7, v0
	v_cmp_eq_u32_e32 vcc, 0, v0
	s_and_saveexec_b64 s[0:1], vcc
	s_cbranch_execz .LBB99_4
; %bb.3:
	v_lshrrev_b32_e32 v0, 2, v2
	v_and_b32_e32 v0, 0x3ffffffe, v0
	global_store_short v0, v1, s[2:3]
.LBB99_4:
	s_endpgm
	.section	.rodata,"a",@progbits
	.p2align	6, 0x0
	.amdhsa_kernel _Z24warp_reduce_valid_kernelI6__halfLj64ELj8EENSt9enable_ifIXsr10test_utilsE35device_test_enabled_for_warp_size_vIXT1_EEEvE4typeEPT_S5_i
		.amdhsa_group_segment_fixed_size 0
		.amdhsa_private_segment_fixed_size 0
		.amdhsa_kernarg_size 280
		.amdhsa_user_sgpr_count 6
		.amdhsa_user_sgpr_private_segment_buffer 1
		.amdhsa_user_sgpr_dispatch_ptr 0
		.amdhsa_user_sgpr_queue_ptr 0
		.amdhsa_user_sgpr_kernarg_segment_ptr 1
		.amdhsa_user_sgpr_dispatch_id 0
		.amdhsa_user_sgpr_flat_scratch_init 0
		.amdhsa_user_sgpr_kernarg_preload_length 0
		.amdhsa_user_sgpr_kernarg_preload_offset 0
		.amdhsa_user_sgpr_private_segment_size 0
		.amdhsa_uses_dynamic_stack 0
		.amdhsa_system_sgpr_private_segment_wavefront_offset 0
		.amdhsa_system_sgpr_workgroup_id_x 1
		.amdhsa_system_sgpr_workgroup_id_y 0
		.amdhsa_system_sgpr_workgroup_id_z 0
		.amdhsa_system_sgpr_workgroup_info 0
		.amdhsa_system_vgpr_workitem_id 0
		.amdhsa_next_free_vgpr 11
		.amdhsa_next_free_sgpr 9
		.amdhsa_accum_offset 12
		.amdhsa_reserve_vcc 1
		.amdhsa_reserve_flat_scratch 0
		.amdhsa_float_round_mode_32 0
		.amdhsa_float_round_mode_16_64 0
		.amdhsa_float_denorm_mode_32 3
		.amdhsa_float_denorm_mode_16_64 3
		.amdhsa_dx10_clamp 1
		.amdhsa_ieee_mode 1
		.amdhsa_fp16_overflow 0
		.amdhsa_tg_split 0
		.amdhsa_exception_fp_ieee_invalid_op 0
		.amdhsa_exception_fp_denorm_src 0
		.amdhsa_exception_fp_ieee_div_zero 0
		.amdhsa_exception_fp_ieee_overflow 0
		.amdhsa_exception_fp_ieee_underflow 0
		.amdhsa_exception_fp_ieee_inexact 0
		.amdhsa_exception_int_div_zero 0
	.end_amdhsa_kernel
	.section	.text._Z24warp_reduce_valid_kernelI6__halfLj64ELj8EENSt9enable_ifIXsr10test_utilsE35device_test_enabled_for_warp_size_vIXT1_EEEvE4typeEPT_S5_i,"axG",@progbits,_Z24warp_reduce_valid_kernelI6__halfLj64ELj8EENSt9enable_ifIXsr10test_utilsE35device_test_enabled_for_warp_size_vIXT1_EEEvE4typeEPT_S5_i,comdat
.Lfunc_end99:
	.size	_Z24warp_reduce_valid_kernelI6__halfLj64ELj8EENSt9enable_ifIXsr10test_utilsE35device_test_enabled_for_warp_size_vIXT1_EEEvE4typeEPT_S5_i, .Lfunc_end99-_Z24warp_reduce_valid_kernelI6__halfLj64ELj8EENSt9enable_ifIXsr10test_utilsE35device_test_enabled_for_warp_size_vIXT1_EEEvE4typeEPT_S5_i
                                        ; -- End function
	.section	.AMDGPU.csdata,"",@progbits
; Kernel info:
; codeLenInByte = 324
; NumSgprs: 13
; NumVgprs: 11
; NumAgprs: 0
; TotalNumVgprs: 11
; ScratchSize: 0
; MemoryBound: 0
; FloatMode: 240
; IeeeMode: 1
; LDSByteSize: 0 bytes/workgroup (compile time only)
; SGPRBlocks: 1
; VGPRBlocks: 1
; NumSGPRsForWavesPerEU: 13
; NumVGPRsForWavesPerEU: 11
; AccumOffset: 12
; Occupancy: 8
; WaveLimiterHint : 0
; COMPUTE_PGM_RSRC2:SCRATCH_EN: 0
; COMPUTE_PGM_RSRC2:USER_SGPR: 6
; COMPUTE_PGM_RSRC2:TRAP_HANDLER: 0
; COMPUTE_PGM_RSRC2:TGID_X_EN: 1
; COMPUTE_PGM_RSRC2:TGID_Y_EN: 0
; COMPUTE_PGM_RSRC2:TGID_Z_EN: 0
; COMPUTE_PGM_RSRC2:TIDIG_COMP_CNT: 0
; COMPUTE_PGM_RSRC3_GFX90A:ACCUM_OFFSET: 2
; COMPUTE_PGM_RSRC3_GFX90A:TG_SPLIT: 0
	.section	.text._Z24warp_reduce_valid_kernelI6__halfLj32ELj4EENSt9enable_ifIXsr10test_utilsE35device_test_enabled_for_warp_size_vIXT1_EEEvE4typeEPT_S5_i,"axG",@progbits,_Z24warp_reduce_valid_kernelI6__halfLj32ELj4EENSt9enable_ifIXsr10test_utilsE35device_test_enabled_for_warp_size_vIXT1_EEEvE4typeEPT_S5_i,comdat
	.protected	_Z24warp_reduce_valid_kernelI6__halfLj32ELj4EENSt9enable_ifIXsr10test_utilsE35device_test_enabled_for_warp_size_vIXT1_EEEvE4typeEPT_S5_i ; -- Begin function _Z24warp_reduce_valid_kernelI6__halfLj32ELj4EENSt9enable_ifIXsr10test_utilsE35device_test_enabled_for_warp_size_vIXT1_EEEvE4typeEPT_S5_i
	.globl	_Z24warp_reduce_valid_kernelI6__halfLj32ELj4EENSt9enable_ifIXsr10test_utilsE35device_test_enabled_for_warp_size_vIXT1_EEEvE4typeEPT_S5_i
	.p2align	8
	.type	_Z24warp_reduce_valid_kernelI6__halfLj32ELj4EENSt9enable_ifIXsr10test_utilsE35device_test_enabled_for_warp_size_vIXT1_EEEvE4typeEPT_S5_i,@function
_Z24warp_reduce_valid_kernelI6__halfLj32ELj4EENSt9enable_ifIXsr10test_utilsE35device_test_enabled_for_warp_size_vIXT1_EEEvE4typeEPT_S5_i: ; @_Z24warp_reduce_valid_kernelI6__halfLj32ELj4EENSt9enable_ifIXsr10test_utilsE35device_test_enabled_for_warp_size_vIXT1_EEEvE4typeEPT_S5_i
; %bb.0:
	s_load_dword s8, s[4:5], 0x24
	s_load_dwordx4 s[0:3], s[4:5], 0x0
	s_load_dword s7, s[4:5], 0x10
	v_mov_b32_e32 v3, 0
	s_waitcnt lgkmcnt(0)
	s_and_b32 s4, s8, 0xffff
	s_mul_i32 s6, s6, s4
	v_add_u32_e32 v2, s6, v0
	v_lshlrev_b64 v[4:5], 1, v[2:3]
	v_mov_b32_e32 v1, s1
	v_add_co_u32_e32 v4, vcc, s0, v4
	v_addc_co_u32_e32 v5, vcc, v1, v5, vcc
	global_load_ushort v1, v[4:5], off
	v_mbcnt_lo_u32_b32 v3, -1, 0
	v_mbcnt_hi_u32_b32 v5, -1, v3
	v_and_b32_e32 v3, 3, v5
	v_cmp_ne_u32_e32 vcc, 3, v3
	v_addc_co_u32_e32 v4, vcc, 0, v5, vcc
	v_lshlrev_b32_e32 v4, 2, v4
	v_cmp_gt_u32_e32 vcc, 2, v3
	v_add_u32_e32 v7, 1, v3
	v_cndmask_b32_e64 v8, 0, 1, vcc
	v_lshlrev_b32_e32 v8, 1, v8
	v_cmp_gt_u32_e32 vcc, s7, v7
	v_add_lshl_u32 v5, v8, v5, 2
	v_and_b32_e32 v0, 3, v0
	v_cmp_eq_u32_e64 s[0:1], 0, v0
	s_waitcnt vmcnt(0)
	v_and_b32_e32 v6, 0xffff, v1
	ds_bpermute_b32 v4, v4, v6
	s_waitcnt lgkmcnt(0)
	v_add_f16_e32 v4, v1, v4
	v_cndmask_b32_e32 v6, v6, v4, vcc
	ds_bpermute_b32 v5, v5, v6
	s_and_saveexec_b64 s[4:5], s[0:1]
	s_cbranch_execz .LBB100_2
; %bb.1:
	v_lshrrev_b32_e32 v0, 1, v2
	v_add_u32_e32 v2, 2, v3
	s_waitcnt lgkmcnt(0)
	v_add_f16_e32 v3, v4, v5
	v_cmp_gt_u32_e64 s[0:1], s7, v2
	v_cndmask_b32_e64 v2, v4, v3, s[0:1]
	v_and_b32_e32 v0, 0x7ffffffe, v0
	v_cndmask_b32_e32 v1, v1, v2, vcc
	global_store_short v0, v1, s[2:3]
.LBB100_2:
	s_endpgm
	.section	.rodata,"a",@progbits
	.p2align	6, 0x0
	.amdhsa_kernel _Z24warp_reduce_valid_kernelI6__halfLj32ELj4EENSt9enable_ifIXsr10test_utilsE35device_test_enabled_for_warp_size_vIXT1_EEEvE4typeEPT_S5_i
		.amdhsa_group_segment_fixed_size 0
		.amdhsa_private_segment_fixed_size 0
		.amdhsa_kernarg_size 280
		.amdhsa_user_sgpr_count 6
		.amdhsa_user_sgpr_private_segment_buffer 1
		.amdhsa_user_sgpr_dispatch_ptr 0
		.amdhsa_user_sgpr_queue_ptr 0
		.amdhsa_user_sgpr_kernarg_segment_ptr 1
		.amdhsa_user_sgpr_dispatch_id 0
		.amdhsa_user_sgpr_flat_scratch_init 0
		.amdhsa_user_sgpr_kernarg_preload_length 0
		.amdhsa_user_sgpr_kernarg_preload_offset 0
		.amdhsa_user_sgpr_private_segment_size 0
		.amdhsa_uses_dynamic_stack 0
		.amdhsa_system_sgpr_private_segment_wavefront_offset 0
		.amdhsa_system_sgpr_workgroup_id_x 1
		.amdhsa_system_sgpr_workgroup_id_y 0
		.amdhsa_system_sgpr_workgroup_id_z 0
		.amdhsa_system_sgpr_workgroup_info 0
		.amdhsa_system_vgpr_workitem_id 0
		.amdhsa_next_free_vgpr 9
		.amdhsa_next_free_sgpr 9
		.amdhsa_accum_offset 12
		.amdhsa_reserve_vcc 1
		.amdhsa_reserve_flat_scratch 0
		.amdhsa_float_round_mode_32 0
		.amdhsa_float_round_mode_16_64 0
		.amdhsa_float_denorm_mode_32 3
		.amdhsa_float_denorm_mode_16_64 3
		.amdhsa_dx10_clamp 1
		.amdhsa_ieee_mode 1
		.amdhsa_fp16_overflow 0
		.amdhsa_tg_split 0
		.amdhsa_exception_fp_ieee_invalid_op 0
		.amdhsa_exception_fp_denorm_src 0
		.amdhsa_exception_fp_ieee_div_zero 0
		.amdhsa_exception_fp_ieee_overflow 0
		.amdhsa_exception_fp_ieee_underflow 0
		.amdhsa_exception_fp_ieee_inexact 0
		.amdhsa_exception_int_div_zero 0
	.end_amdhsa_kernel
	.section	.text._Z24warp_reduce_valid_kernelI6__halfLj32ELj4EENSt9enable_ifIXsr10test_utilsE35device_test_enabled_for_warp_size_vIXT1_EEEvE4typeEPT_S5_i,"axG",@progbits,_Z24warp_reduce_valid_kernelI6__halfLj32ELj4EENSt9enable_ifIXsr10test_utilsE35device_test_enabled_for_warp_size_vIXT1_EEEvE4typeEPT_S5_i,comdat
.Lfunc_end100:
	.size	_Z24warp_reduce_valid_kernelI6__halfLj32ELj4EENSt9enable_ifIXsr10test_utilsE35device_test_enabled_for_warp_size_vIXT1_EEEvE4typeEPT_S5_i, .Lfunc_end100-_Z24warp_reduce_valid_kernelI6__halfLj32ELj4EENSt9enable_ifIXsr10test_utilsE35device_test_enabled_for_warp_size_vIXT1_EEEvE4typeEPT_S5_i
                                        ; -- End function
	.section	.AMDGPU.csdata,"",@progbits
; Kernel info:
; codeLenInByte = 256
; NumSgprs: 13
; NumVgprs: 9
; NumAgprs: 0
; TotalNumVgprs: 9
; ScratchSize: 0
; MemoryBound: 0
; FloatMode: 240
; IeeeMode: 1
; LDSByteSize: 0 bytes/workgroup (compile time only)
; SGPRBlocks: 1
; VGPRBlocks: 1
; NumSGPRsForWavesPerEU: 13
; NumVGPRsForWavesPerEU: 9
; AccumOffset: 12
; Occupancy: 8
; WaveLimiterHint : 0
; COMPUTE_PGM_RSRC2:SCRATCH_EN: 0
; COMPUTE_PGM_RSRC2:USER_SGPR: 6
; COMPUTE_PGM_RSRC2:TRAP_HANDLER: 0
; COMPUTE_PGM_RSRC2:TGID_X_EN: 1
; COMPUTE_PGM_RSRC2:TGID_Y_EN: 0
; COMPUTE_PGM_RSRC2:TGID_Z_EN: 0
; COMPUTE_PGM_RSRC2:TIDIG_COMP_CNT: 0
; COMPUTE_PGM_RSRC3_GFX90A:ACCUM_OFFSET: 2
; COMPUTE_PGM_RSRC3_GFX90A:TG_SPLIT: 0
	.section	.text._Z24warp_reduce_valid_kernelI6__halfLj64ELj4EENSt9enable_ifIXsr10test_utilsE35device_test_enabled_for_warp_size_vIXT1_EEEvE4typeEPT_S5_i,"axG",@progbits,_Z24warp_reduce_valid_kernelI6__halfLj64ELj4EENSt9enable_ifIXsr10test_utilsE35device_test_enabled_for_warp_size_vIXT1_EEEvE4typeEPT_S5_i,comdat
	.protected	_Z24warp_reduce_valid_kernelI6__halfLj64ELj4EENSt9enable_ifIXsr10test_utilsE35device_test_enabled_for_warp_size_vIXT1_EEEvE4typeEPT_S5_i ; -- Begin function _Z24warp_reduce_valid_kernelI6__halfLj64ELj4EENSt9enable_ifIXsr10test_utilsE35device_test_enabled_for_warp_size_vIXT1_EEEvE4typeEPT_S5_i
	.globl	_Z24warp_reduce_valid_kernelI6__halfLj64ELj4EENSt9enable_ifIXsr10test_utilsE35device_test_enabled_for_warp_size_vIXT1_EEEvE4typeEPT_S5_i
	.p2align	8
	.type	_Z24warp_reduce_valid_kernelI6__halfLj64ELj4EENSt9enable_ifIXsr10test_utilsE35device_test_enabled_for_warp_size_vIXT1_EEEvE4typeEPT_S5_i,@function
_Z24warp_reduce_valid_kernelI6__halfLj64ELj4EENSt9enable_ifIXsr10test_utilsE35device_test_enabled_for_warp_size_vIXT1_EEEvE4typeEPT_S5_i: ; @_Z24warp_reduce_valid_kernelI6__halfLj64ELj4EENSt9enable_ifIXsr10test_utilsE35device_test_enabled_for_warp_size_vIXT1_EEEvE4typeEPT_S5_i
; %bb.0:
	s_load_dword s8, s[4:5], 0x24
	s_load_dwordx4 s[0:3], s[4:5], 0x0
	s_load_dword s7, s[4:5], 0x10
	v_mov_b32_e32 v3, 0
	s_waitcnt lgkmcnt(0)
	s_and_b32 s4, s8, 0xffff
	s_mul_i32 s6, s6, s4
	v_add_u32_e32 v2, s6, v0
	v_lshlrev_b64 v[4:5], 1, v[2:3]
	v_mov_b32_e32 v1, s1
	v_add_co_u32_e32 v4, vcc, s0, v4
	v_addc_co_u32_e32 v5, vcc, v1, v5, vcc
	global_load_ushort v1, v[4:5], off
	v_mbcnt_lo_u32_b32 v3, -1, 0
	v_mbcnt_hi_u32_b32 v5, -1, v3
	v_and_b32_e32 v3, 3, v5
	v_cmp_ne_u32_e32 vcc, 3, v3
	v_addc_co_u32_e32 v4, vcc, 0, v5, vcc
	v_lshlrev_b32_e32 v4, 2, v4
	v_cmp_gt_u32_e32 vcc, 2, v3
	v_add_u32_e32 v7, 1, v3
	v_cndmask_b32_e64 v8, 0, 1, vcc
	v_lshlrev_b32_e32 v8, 1, v8
	v_cmp_gt_u32_e32 vcc, s7, v7
	v_add_lshl_u32 v5, v8, v5, 2
	v_and_b32_e32 v0, 3, v0
	v_cmp_eq_u32_e64 s[0:1], 0, v0
	s_waitcnt vmcnt(0)
	v_and_b32_e32 v6, 0xffff, v1
	ds_bpermute_b32 v4, v4, v6
	s_waitcnt lgkmcnt(0)
	v_add_f16_e32 v4, v1, v4
	v_cndmask_b32_e32 v6, v6, v4, vcc
	ds_bpermute_b32 v5, v5, v6
	s_and_saveexec_b64 s[4:5], s[0:1]
	s_cbranch_execz .LBB101_2
; %bb.1:
	v_lshrrev_b32_e32 v0, 1, v2
	v_add_u32_e32 v2, 2, v3
	s_waitcnt lgkmcnt(0)
	v_add_f16_e32 v3, v4, v5
	v_cmp_gt_u32_e64 s[0:1], s7, v2
	v_cndmask_b32_e64 v2, v4, v3, s[0:1]
	v_and_b32_e32 v0, 0x7ffffffe, v0
	v_cndmask_b32_e32 v1, v1, v2, vcc
	global_store_short v0, v1, s[2:3]
.LBB101_2:
	s_endpgm
	.section	.rodata,"a",@progbits
	.p2align	6, 0x0
	.amdhsa_kernel _Z24warp_reduce_valid_kernelI6__halfLj64ELj4EENSt9enable_ifIXsr10test_utilsE35device_test_enabled_for_warp_size_vIXT1_EEEvE4typeEPT_S5_i
		.amdhsa_group_segment_fixed_size 0
		.amdhsa_private_segment_fixed_size 0
		.amdhsa_kernarg_size 280
		.amdhsa_user_sgpr_count 6
		.amdhsa_user_sgpr_private_segment_buffer 1
		.amdhsa_user_sgpr_dispatch_ptr 0
		.amdhsa_user_sgpr_queue_ptr 0
		.amdhsa_user_sgpr_kernarg_segment_ptr 1
		.amdhsa_user_sgpr_dispatch_id 0
		.amdhsa_user_sgpr_flat_scratch_init 0
		.amdhsa_user_sgpr_kernarg_preload_length 0
		.amdhsa_user_sgpr_kernarg_preload_offset 0
		.amdhsa_user_sgpr_private_segment_size 0
		.amdhsa_uses_dynamic_stack 0
		.amdhsa_system_sgpr_private_segment_wavefront_offset 0
		.amdhsa_system_sgpr_workgroup_id_x 1
		.amdhsa_system_sgpr_workgroup_id_y 0
		.amdhsa_system_sgpr_workgroup_id_z 0
		.amdhsa_system_sgpr_workgroup_info 0
		.amdhsa_system_vgpr_workitem_id 0
		.amdhsa_next_free_vgpr 9
		.amdhsa_next_free_sgpr 9
		.amdhsa_accum_offset 12
		.amdhsa_reserve_vcc 1
		.amdhsa_reserve_flat_scratch 0
		.amdhsa_float_round_mode_32 0
		.amdhsa_float_round_mode_16_64 0
		.amdhsa_float_denorm_mode_32 3
		.amdhsa_float_denorm_mode_16_64 3
		.amdhsa_dx10_clamp 1
		.amdhsa_ieee_mode 1
		.amdhsa_fp16_overflow 0
		.amdhsa_tg_split 0
		.amdhsa_exception_fp_ieee_invalid_op 0
		.amdhsa_exception_fp_denorm_src 0
		.amdhsa_exception_fp_ieee_div_zero 0
		.amdhsa_exception_fp_ieee_overflow 0
		.amdhsa_exception_fp_ieee_underflow 0
		.amdhsa_exception_fp_ieee_inexact 0
		.amdhsa_exception_int_div_zero 0
	.end_amdhsa_kernel
	.section	.text._Z24warp_reduce_valid_kernelI6__halfLj64ELj4EENSt9enable_ifIXsr10test_utilsE35device_test_enabled_for_warp_size_vIXT1_EEEvE4typeEPT_S5_i,"axG",@progbits,_Z24warp_reduce_valid_kernelI6__halfLj64ELj4EENSt9enable_ifIXsr10test_utilsE35device_test_enabled_for_warp_size_vIXT1_EEEvE4typeEPT_S5_i,comdat
.Lfunc_end101:
	.size	_Z24warp_reduce_valid_kernelI6__halfLj64ELj4EENSt9enable_ifIXsr10test_utilsE35device_test_enabled_for_warp_size_vIXT1_EEEvE4typeEPT_S5_i, .Lfunc_end101-_Z24warp_reduce_valid_kernelI6__halfLj64ELj4EENSt9enable_ifIXsr10test_utilsE35device_test_enabled_for_warp_size_vIXT1_EEEvE4typeEPT_S5_i
                                        ; -- End function
	.section	.AMDGPU.csdata,"",@progbits
; Kernel info:
; codeLenInByte = 256
; NumSgprs: 13
; NumVgprs: 9
; NumAgprs: 0
; TotalNumVgprs: 9
; ScratchSize: 0
; MemoryBound: 0
; FloatMode: 240
; IeeeMode: 1
; LDSByteSize: 0 bytes/workgroup (compile time only)
; SGPRBlocks: 1
; VGPRBlocks: 1
; NumSGPRsForWavesPerEU: 13
; NumVGPRsForWavesPerEU: 9
; AccumOffset: 12
; Occupancy: 8
; WaveLimiterHint : 0
; COMPUTE_PGM_RSRC2:SCRATCH_EN: 0
; COMPUTE_PGM_RSRC2:USER_SGPR: 6
; COMPUTE_PGM_RSRC2:TRAP_HANDLER: 0
; COMPUTE_PGM_RSRC2:TGID_X_EN: 1
; COMPUTE_PGM_RSRC2:TGID_Y_EN: 0
; COMPUTE_PGM_RSRC2:TGID_Z_EN: 0
; COMPUTE_PGM_RSRC2:TIDIG_COMP_CNT: 0
; COMPUTE_PGM_RSRC3_GFX90A:ACCUM_OFFSET: 2
; COMPUTE_PGM_RSRC3_GFX90A:TG_SPLIT: 0
	.section	.text._Z24warp_reduce_valid_kernelI6__halfLj32ELj2EENSt9enable_ifIXsr10test_utilsE35device_test_enabled_for_warp_size_vIXT1_EEEvE4typeEPT_S5_i,"axG",@progbits,_Z24warp_reduce_valid_kernelI6__halfLj32ELj2EENSt9enable_ifIXsr10test_utilsE35device_test_enabled_for_warp_size_vIXT1_EEEvE4typeEPT_S5_i,comdat
	.protected	_Z24warp_reduce_valid_kernelI6__halfLj32ELj2EENSt9enable_ifIXsr10test_utilsE35device_test_enabled_for_warp_size_vIXT1_EEEvE4typeEPT_S5_i ; -- Begin function _Z24warp_reduce_valid_kernelI6__halfLj32ELj2EENSt9enable_ifIXsr10test_utilsE35device_test_enabled_for_warp_size_vIXT1_EEEvE4typeEPT_S5_i
	.globl	_Z24warp_reduce_valid_kernelI6__halfLj32ELj2EENSt9enable_ifIXsr10test_utilsE35device_test_enabled_for_warp_size_vIXT1_EEEvE4typeEPT_S5_i
	.p2align	8
	.type	_Z24warp_reduce_valid_kernelI6__halfLj32ELj2EENSt9enable_ifIXsr10test_utilsE35device_test_enabled_for_warp_size_vIXT1_EEEvE4typeEPT_S5_i,@function
_Z24warp_reduce_valid_kernelI6__halfLj32ELj2EENSt9enable_ifIXsr10test_utilsE35device_test_enabled_for_warp_size_vIXT1_EEEvE4typeEPT_S5_i: ; @_Z24warp_reduce_valid_kernelI6__halfLj32ELj2EENSt9enable_ifIXsr10test_utilsE35device_test_enabled_for_warp_size_vIXT1_EEEvE4typeEPT_S5_i
; %bb.0:
	s_load_dword s7, s[4:5], 0x24
	s_load_dwordx4 s[0:3], s[4:5], 0x0
	v_mov_b32_e32 v3, 0
	s_waitcnt lgkmcnt(0)
	s_and_b32 s7, s7, 0xffff
	s_mul_i32 s6, s6, s7
	v_add_u32_e32 v2, s6, v0
	v_lshlrev_b64 v[4:5], 1, v[2:3]
	v_mov_b32_e32 v1, s1
	v_add_co_u32_e32 v4, vcc, s0, v4
	v_addc_co_u32_e32 v5, vcc, v1, v5, vcc
	global_load_ushort v1, v[4:5], off
	v_mbcnt_lo_u32_b32 v3, -1, 0
	v_mbcnt_hi_u32_b32 v3, -1, v3
	v_lshl_or_b32 v5, v3, 2, 4
	v_and_b32_e32 v0, 1, v0
	v_cmp_eq_u32_e32 vcc, 0, v0
	s_waitcnt vmcnt(0)
	v_and_b32_e32 v4, 0xffff, v1
	ds_bpermute_b32 v4, v5, v4
	s_and_saveexec_b64 s[0:1], vcc
	s_cbranch_execz .LBB102_2
; %bb.1:
	s_load_dword s0, s[4:5], 0x10
	v_and_b32_e32 v0, -2, v2
	v_and_b32_e32 v2, 1, v3
	v_add_u32_e32 v2, 1, v2
	s_waitcnt lgkmcnt(0)
	v_add_f16_e32 v3, v1, v4
	v_cmp_gt_u32_e32 vcc, s0, v2
	v_cndmask_b32_e32 v1, v1, v3, vcc
	global_store_short v0, v1, s[2:3]
.LBB102_2:
	s_endpgm
	.section	.rodata,"a",@progbits
	.p2align	6, 0x0
	.amdhsa_kernel _Z24warp_reduce_valid_kernelI6__halfLj32ELj2EENSt9enable_ifIXsr10test_utilsE35device_test_enabled_for_warp_size_vIXT1_EEEvE4typeEPT_S5_i
		.amdhsa_group_segment_fixed_size 0
		.amdhsa_private_segment_fixed_size 0
		.amdhsa_kernarg_size 280
		.amdhsa_user_sgpr_count 6
		.amdhsa_user_sgpr_private_segment_buffer 1
		.amdhsa_user_sgpr_dispatch_ptr 0
		.amdhsa_user_sgpr_queue_ptr 0
		.amdhsa_user_sgpr_kernarg_segment_ptr 1
		.amdhsa_user_sgpr_dispatch_id 0
		.amdhsa_user_sgpr_flat_scratch_init 0
		.amdhsa_user_sgpr_kernarg_preload_length 0
		.amdhsa_user_sgpr_kernarg_preload_offset 0
		.amdhsa_user_sgpr_private_segment_size 0
		.amdhsa_uses_dynamic_stack 0
		.amdhsa_system_sgpr_private_segment_wavefront_offset 0
		.amdhsa_system_sgpr_workgroup_id_x 1
		.amdhsa_system_sgpr_workgroup_id_y 0
		.amdhsa_system_sgpr_workgroup_id_z 0
		.amdhsa_system_sgpr_workgroup_info 0
		.amdhsa_system_vgpr_workitem_id 0
		.amdhsa_next_free_vgpr 6
		.amdhsa_next_free_sgpr 8
		.amdhsa_accum_offset 8
		.amdhsa_reserve_vcc 1
		.amdhsa_reserve_flat_scratch 0
		.amdhsa_float_round_mode_32 0
		.amdhsa_float_round_mode_16_64 0
		.amdhsa_float_denorm_mode_32 3
		.amdhsa_float_denorm_mode_16_64 3
		.amdhsa_dx10_clamp 1
		.amdhsa_ieee_mode 1
		.amdhsa_fp16_overflow 0
		.amdhsa_tg_split 0
		.amdhsa_exception_fp_ieee_invalid_op 0
		.amdhsa_exception_fp_denorm_src 0
		.amdhsa_exception_fp_ieee_div_zero 0
		.amdhsa_exception_fp_ieee_overflow 0
		.amdhsa_exception_fp_ieee_underflow 0
		.amdhsa_exception_fp_ieee_inexact 0
		.amdhsa_exception_int_div_zero 0
	.end_amdhsa_kernel
	.section	.text._Z24warp_reduce_valid_kernelI6__halfLj32ELj2EENSt9enable_ifIXsr10test_utilsE35device_test_enabled_for_warp_size_vIXT1_EEEvE4typeEPT_S5_i,"axG",@progbits,_Z24warp_reduce_valid_kernelI6__halfLj32ELj2EENSt9enable_ifIXsr10test_utilsE35device_test_enabled_for_warp_size_vIXT1_EEEvE4typeEPT_S5_i,comdat
.Lfunc_end102:
	.size	_Z24warp_reduce_valid_kernelI6__halfLj32ELj2EENSt9enable_ifIXsr10test_utilsE35device_test_enabled_for_warp_size_vIXT1_EEEvE4typeEPT_S5_i, .Lfunc_end102-_Z24warp_reduce_valid_kernelI6__halfLj32ELj2EENSt9enable_ifIXsr10test_utilsE35device_test_enabled_for_warp_size_vIXT1_EEEvE4typeEPT_S5_i
                                        ; -- End function
	.section	.AMDGPU.csdata,"",@progbits
; Kernel info:
; codeLenInByte = 176
; NumSgprs: 12
; NumVgprs: 6
; NumAgprs: 0
; TotalNumVgprs: 6
; ScratchSize: 0
; MemoryBound: 0
; FloatMode: 240
; IeeeMode: 1
; LDSByteSize: 0 bytes/workgroup (compile time only)
; SGPRBlocks: 1
; VGPRBlocks: 0
; NumSGPRsForWavesPerEU: 12
; NumVGPRsForWavesPerEU: 6
; AccumOffset: 8
; Occupancy: 8
; WaveLimiterHint : 0
; COMPUTE_PGM_RSRC2:SCRATCH_EN: 0
; COMPUTE_PGM_RSRC2:USER_SGPR: 6
; COMPUTE_PGM_RSRC2:TRAP_HANDLER: 0
; COMPUTE_PGM_RSRC2:TGID_X_EN: 1
; COMPUTE_PGM_RSRC2:TGID_Y_EN: 0
; COMPUTE_PGM_RSRC2:TGID_Z_EN: 0
; COMPUTE_PGM_RSRC2:TIDIG_COMP_CNT: 0
; COMPUTE_PGM_RSRC3_GFX90A:ACCUM_OFFSET: 1
; COMPUTE_PGM_RSRC3_GFX90A:TG_SPLIT: 0
	.section	.text._Z24warp_reduce_valid_kernelI6__halfLj64ELj2EENSt9enable_ifIXsr10test_utilsE35device_test_enabled_for_warp_size_vIXT1_EEEvE4typeEPT_S5_i,"axG",@progbits,_Z24warp_reduce_valid_kernelI6__halfLj64ELj2EENSt9enable_ifIXsr10test_utilsE35device_test_enabled_for_warp_size_vIXT1_EEEvE4typeEPT_S5_i,comdat
	.protected	_Z24warp_reduce_valid_kernelI6__halfLj64ELj2EENSt9enable_ifIXsr10test_utilsE35device_test_enabled_for_warp_size_vIXT1_EEEvE4typeEPT_S5_i ; -- Begin function _Z24warp_reduce_valid_kernelI6__halfLj64ELj2EENSt9enable_ifIXsr10test_utilsE35device_test_enabled_for_warp_size_vIXT1_EEEvE4typeEPT_S5_i
	.globl	_Z24warp_reduce_valid_kernelI6__halfLj64ELj2EENSt9enable_ifIXsr10test_utilsE35device_test_enabled_for_warp_size_vIXT1_EEEvE4typeEPT_S5_i
	.p2align	8
	.type	_Z24warp_reduce_valid_kernelI6__halfLj64ELj2EENSt9enable_ifIXsr10test_utilsE35device_test_enabled_for_warp_size_vIXT1_EEEvE4typeEPT_S5_i,@function
_Z24warp_reduce_valid_kernelI6__halfLj64ELj2EENSt9enable_ifIXsr10test_utilsE35device_test_enabled_for_warp_size_vIXT1_EEEvE4typeEPT_S5_i: ; @_Z24warp_reduce_valid_kernelI6__halfLj64ELj2EENSt9enable_ifIXsr10test_utilsE35device_test_enabled_for_warp_size_vIXT1_EEEvE4typeEPT_S5_i
; %bb.0:
	s_load_dword s7, s[4:5], 0x24
	s_load_dwordx4 s[0:3], s[4:5], 0x0
	v_mov_b32_e32 v3, 0
	s_waitcnt lgkmcnt(0)
	s_and_b32 s7, s7, 0xffff
	s_mul_i32 s6, s6, s7
	v_add_u32_e32 v2, s6, v0
	v_lshlrev_b64 v[4:5], 1, v[2:3]
	v_mov_b32_e32 v1, s1
	v_add_co_u32_e32 v4, vcc, s0, v4
	v_addc_co_u32_e32 v5, vcc, v1, v5, vcc
	global_load_ushort v1, v[4:5], off
	v_mbcnt_lo_u32_b32 v3, -1, 0
	v_mbcnt_hi_u32_b32 v3, -1, v3
	v_lshl_or_b32 v5, v3, 2, 4
	v_and_b32_e32 v0, 1, v0
	v_cmp_eq_u32_e32 vcc, 0, v0
	s_waitcnt vmcnt(0)
	v_and_b32_e32 v4, 0xffff, v1
	ds_bpermute_b32 v4, v5, v4
	s_and_saveexec_b64 s[0:1], vcc
	s_cbranch_execz .LBB103_2
; %bb.1:
	s_load_dword s0, s[4:5], 0x10
	v_and_b32_e32 v0, -2, v2
	v_and_b32_e32 v2, 1, v3
	v_add_u32_e32 v2, 1, v2
	s_waitcnt lgkmcnt(0)
	v_add_f16_e32 v3, v1, v4
	v_cmp_gt_u32_e32 vcc, s0, v2
	v_cndmask_b32_e32 v1, v1, v3, vcc
	global_store_short v0, v1, s[2:3]
.LBB103_2:
	s_endpgm
	.section	.rodata,"a",@progbits
	.p2align	6, 0x0
	.amdhsa_kernel _Z24warp_reduce_valid_kernelI6__halfLj64ELj2EENSt9enable_ifIXsr10test_utilsE35device_test_enabled_for_warp_size_vIXT1_EEEvE4typeEPT_S5_i
		.amdhsa_group_segment_fixed_size 0
		.amdhsa_private_segment_fixed_size 0
		.amdhsa_kernarg_size 280
		.amdhsa_user_sgpr_count 6
		.amdhsa_user_sgpr_private_segment_buffer 1
		.amdhsa_user_sgpr_dispatch_ptr 0
		.amdhsa_user_sgpr_queue_ptr 0
		.amdhsa_user_sgpr_kernarg_segment_ptr 1
		.amdhsa_user_sgpr_dispatch_id 0
		.amdhsa_user_sgpr_flat_scratch_init 0
		.amdhsa_user_sgpr_kernarg_preload_length 0
		.amdhsa_user_sgpr_kernarg_preload_offset 0
		.amdhsa_user_sgpr_private_segment_size 0
		.amdhsa_uses_dynamic_stack 0
		.amdhsa_system_sgpr_private_segment_wavefront_offset 0
		.amdhsa_system_sgpr_workgroup_id_x 1
		.amdhsa_system_sgpr_workgroup_id_y 0
		.amdhsa_system_sgpr_workgroup_id_z 0
		.amdhsa_system_sgpr_workgroup_info 0
		.amdhsa_system_vgpr_workitem_id 0
		.amdhsa_next_free_vgpr 6
		.amdhsa_next_free_sgpr 8
		.amdhsa_accum_offset 8
		.amdhsa_reserve_vcc 1
		.amdhsa_reserve_flat_scratch 0
		.amdhsa_float_round_mode_32 0
		.amdhsa_float_round_mode_16_64 0
		.amdhsa_float_denorm_mode_32 3
		.amdhsa_float_denorm_mode_16_64 3
		.amdhsa_dx10_clamp 1
		.amdhsa_ieee_mode 1
		.amdhsa_fp16_overflow 0
		.amdhsa_tg_split 0
		.amdhsa_exception_fp_ieee_invalid_op 0
		.amdhsa_exception_fp_denorm_src 0
		.amdhsa_exception_fp_ieee_div_zero 0
		.amdhsa_exception_fp_ieee_overflow 0
		.amdhsa_exception_fp_ieee_underflow 0
		.amdhsa_exception_fp_ieee_inexact 0
		.amdhsa_exception_int_div_zero 0
	.end_amdhsa_kernel
	.section	.text._Z24warp_reduce_valid_kernelI6__halfLj64ELj2EENSt9enable_ifIXsr10test_utilsE35device_test_enabled_for_warp_size_vIXT1_EEEvE4typeEPT_S5_i,"axG",@progbits,_Z24warp_reduce_valid_kernelI6__halfLj64ELj2EENSt9enable_ifIXsr10test_utilsE35device_test_enabled_for_warp_size_vIXT1_EEEvE4typeEPT_S5_i,comdat
.Lfunc_end103:
	.size	_Z24warp_reduce_valid_kernelI6__halfLj64ELj2EENSt9enable_ifIXsr10test_utilsE35device_test_enabled_for_warp_size_vIXT1_EEEvE4typeEPT_S5_i, .Lfunc_end103-_Z24warp_reduce_valid_kernelI6__halfLj64ELj2EENSt9enable_ifIXsr10test_utilsE35device_test_enabled_for_warp_size_vIXT1_EEEvE4typeEPT_S5_i
                                        ; -- End function
	.section	.AMDGPU.csdata,"",@progbits
; Kernel info:
; codeLenInByte = 176
; NumSgprs: 12
; NumVgprs: 6
; NumAgprs: 0
; TotalNumVgprs: 6
; ScratchSize: 0
; MemoryBound: 0
; FloatMode: 240
; IeeeMode: 1
; LDSByteSize: 0 bytes/workgroup (compile time only)
; SGPRBlocks: 1
; VGPRBlocks: 0
; NumSGPRsForWavesPerEU: 12
; NumVGPRsForWavesPerEU: 6
; AccumOffset: 8
; Occupancy: 8
; WaveLimiterHint : 0
; COMPUTE_PGM_RSRC2:SCRATCH_EN: 0
; COMPUTE_PGM_RSRC2:USER_SGPR: 6
; COMPUTE_PGM_RSRC2:TRAP_HANDLER: 0
; COMPUTE_PGM_RSRC2:TGID_X_EN: 1
; COMPUTE_PGM_RSRC2:TGID_Y_EN: 0
; COMPUTE_PGM_RSRC2:TGID_Z_EN: 0
; COMPUTE_PGM_RSRC2:TIDIG_COMP_CNT: 0
; COMPUTE_PGM_RSRC3_GFX90A:ACCUM_OFFSET: 1
; COMPUTE_PGM_RSRC3_GFX90A:TG_SPLIT: 0
	.section	.text._Z24warp_reduce_valid_kernelI6__halfLj32ELj1EENSt9enable_ifIXsr10test_utilsE35device_test_enabled_for_warp_size_vIXT1_EEEvE4typeEPT_S5_i,"axG",@progbits,_Z24warp_reduce_valid_kernelI6__halfLj32ELj1EENSt9enable_ifIXsr10test_utilsE35device_test_enabled_for_warp_size_vIXT1_EEEvE4typeEPT_S5_i,comdat
	.protected	_Z24warp_reduce_valid_kernelI6__halfLj32ELj1EENSt9enable_ifIXsr10test_utilsE35device_test_enabled_for_warp_size_vIXT1_EEEvE4typeEPT_S5_i ; -- Begin function _Z24warp_reduce_valid_kernelI6__halfLj32ELj1EENSt9enable_ifIXsr10test_utilsE35device_test_enabled_for_warp_size_vIXT1_EEEvE4typeEPT_S5_i
	.globl	_Z24warp_reduce_valid_kernelI6__halfLj32ELj1EENSt9enable_ifIXsr10test_utilsE35device_test_enabled_for_warp_size_vIXT1_EEEvE4typeEPT_S5_i
	.p2align	8
	.type	_Z24warp_reduce_valid_kernelI6__halfLj32ELj1EENSt9enable_ifIXsr10test_utilsE35device_test_enabled_for_warp_size_vIXT1_EEEvE4typeEPT_S5_i,@function
_Z24warp_reduce_valid_kernelI6__halfLj32ELj1EENSt9enable_ifIXsr10test_utilsE35device_test_enabled_for_warp_size_vIXT1_EEEvE4typeEPT_S5_i: ; @_Z24warp_reduce_valid_kernelI6__halfLj32ELj1EENSt9enable_ifIXsr10test_utilsE35device_test_enabled_for_warp_size_vIXT1_EEEvE4typeEPT_S5_i
; %bb.0:
	s_load_dword s7, s[4:5], 0x24
	s_load_dwordx4 s[0:3], s[4:5], 0x0
	v_mov_b32_e32 v1, 0
	s_waitcnt lgkmcnt(0)
	s_and_b32 s4, s7, 0xffff
	s_mul_i32 s6, s6, s4
	v_add_u32_e32 v0, s6, v0
	v_lshlrev_b64 v[0:1], 1, v[0:1]
	v_mov_b32_e32 v3, s1
	v_add_co_u32_e32 v2, vcc, s0, v0
	v_addc_co_u32_e32 v3, vcc, v3, v1, vcc
	global_load_ushort v2, v[2:3], off
	v_mov_b32_e32 v3, s3
	v_add_co_u32_e32 v0, vcc, s2, v0
	v_addc_co_u32_e32 v1, vcc, v3, v1, vcc
	s_waitcnt vmcnt(0)
	global_store_short v[0:1], v2, off
	s_endpgm
	.section	.rodata,"a",@progbits
	.p2align	6, 0x0
	.amdhsa_kernel _Z24warp_reduce_valid_kernelI6__halfLj32ELj1EENSt9enable_ifIXsr10test_utilsE35device_test_enabled_for_warp_size_vIXT1_EEEvE4typeEPT_S5_i
		.amdhsa_group_segment_fixed_size 0
		.amdhsa_private_segment_fixed_size 0
		.amdhsa_kernarg_size 280
		.amdhsa_user_sgpr_count 6
		.amdhsa_user_sgpr_private_segment_buffer 1
		.amdhsa_user_sgpr_dispatch_ptr 0
		.amdhsa_user_sgpr_queue_ptr 0
		.amdhsa_user_sgpr_kernarg_segment_ptr 1
		.amdhsa_user_sgpr_dispatch_id 0
		.amdhsa_user_sgpr_flat_scratch_init 0
		.amdhsa_user_sgpr_kernarg_preload_length 0
		.amdhsa_user_sgpr_kernarg_preload_offset 0
		.amdhsa_user_sgpr_private_segment_size 0
		.amdhsa_uses_dynamic_stack 0
		.amdhsa_system_sgpr_private_segment_wavefront_offset 0
		.amdhsa_system_sgpr_workgroup_id_x 1
		.amdhsa_system_sgpr_workgroup_id_y 0
		.amdhsa_system_sgpr_workgroup_id_z 0
		.amdhsa_system_sgpr_workgroup_info 0
		.amdhsa_system_vgpr_workitem_id 0
		.amdhsa_next_free_vgpr 4
		.amdhsa_next_free_sgpr 8
		.amdhsa_accum_offset 4
		.amdhsa_reserve_vcc 1
		.amdhsa_reserve_flat_scratch 0
		.amdhsa_float_round_mode_32 0
		.amdhsa_float_round_mode_16_64 0
		.amdhsa_float_denorm_mode_32 3
		.amdhsa_float_denorm_mode_16_64 3
		.amdhsa_dx10_clamp 1
		.amdhsa_ieee_mode 1
		.amdhsa_fp16_overflow 0
		.amdhsa_tg_split 0
		.amdhsa_exception_fp_ieee_invalid_op 0
		.amdhsa_exception_fp_denorm_src 0
		.amdhsa_exception_fp_ieee_div_zero 0
		.amdhsa_exception_fp_ieee_overflow 0
		.amdhsa_exception_fp_ieee_underflow 0
		.amdhsa_exception_fp_ieee_inexact 0
		.amdhsa_exception_int_div_zero 0
	.end_amdhsa_kernel
	.section	.text._Z24warp_reduce_valid_kernelI6__halfLj32ELj1EENSt9enable_ifIXsr10test_utilsE35device_test_enabled_for_warp_size_vIXT1_EEEvE4typeEPT_S5_i,"axG",@progbits,_Z24warp_reduce_valid_kernelI6__halfLj32ELj1EENSt9enable_ifIXsr10test_utilsE35device_test_enabled_for_warp_size_vIXT1_EEEvE4typeEPT_S5_i,comdat
.Lfunc_end104:
	.size	_Z24warp_reduce_valid_kernelI6__halfLj32ELj1EENSt9enable_ifIXsr10test_utilsE35device_test_enabled_for_warp_size_vIXT1_EEEvE4typeEPT_S5_i, .Lfunc_end104-_Z24warp_reduce_valid_kernelI6__halfLj32ELj1EENSt9enable_ifIXsr10test_utilsE35device_test_enabled_for_warp_size_vIXT1_EEEvE4typeEPT_S5_i
                                        ; -- End function
	.section	.AMDGPU.csdata,"",@progbits
; Kernel info:
; codeLenInByte = 96
; NumSgprs: 12
; NumVgprs: 4
; NumAgprs: 0
; TotalNumVgprs: 4
; ScratchSize: 0
; MemoryBound: 0
; FloatMode: 240
; IeeeMode: 1
; LDSByteSize: 0 bytes/workgroup (compile time only)
; SGPRBlocks: 1
; VGPRBlocks: 0
; NumSGPRsForWavesPerEU: 12
; NumVGPRsForWavesPerEU: 4
; AccumOffset: 4
; Occupancy: 8
; WaveLimiterHint : 0
; COMPUTE_PGM_RSRC2:SCRATCH_EN: 0
; COMPUTE_PGM_RSRC2:USER_SGPR: 6
; COMPUTE_PGM_RSRC2:TRAP_HANDLER: 0
; COMPUTE_PGM_RSRC2:TGID_X_EN: 1
; COMPUTE_PGM_RSRC2:TGID_Y_EN: 0
; COMPUTE_PGM_RSRC2:TGID_Z_EN: 0
; COMPUTE_PGM_RSRC2:TIDIG_COMP_CNT: 0
; COMPUTE_PGM_RSRC3_GFX90A:ACCUM_OFFSET: 0
; COMPUTE_PGM_RSRC3_GFX90A:TG_SPLIT: 0
	.section	.text._Z24warp_reduce_valid_kernelI6__halfLj64ELj1EENSt9enable_ifIXsr10test_utilsE35device_test_enabled_for_warp_size_vIXT1_EEEvE4typeEPT_S5_i,"axG",@progbits,_Z24warp_reduce_valid_kernelI6__halfLj64ELj1EENSt9enable_ifIXsr10test_utilsE35device_test_enabled_for_warp_size_vIXT1_EEEvE4typeEPT_S5_i,comdat
	.protected	_Z24warp_reduce_valid_kernelI6__halfLj64ELj1EENSt9enable_ifIXsr10test_utilsE35device_test_enabled_for_warp_size_vIXT1_EEEvE4typeEPT_S5_i ; -- Begin function _Z24warp_reduce_valid_kernelI6__halfLj64ELj1EENSt9enable_ifIXsr10test_utilsE35device_test_enabled_for_warp_size_vIXT1_EEEvE4typeEPT_S5_i
	.globl	_Z24warp_reduce_valid_kernelI6__halfLj64ELj1EENSt9enable_ifIXsr10test_utilsE35device_test_enabled_for_warp_size_vIXT1_EEEvE4typeEPT_S5_i
	.p2align	8
	.type	_Z24warp_reduce_valid_kernelI6__halfLj64ELj1EENSt9enable_ifIXsr10test_utilsE35device_test_enabled_for_warp_size_vIXT1_EEEvE4typeEPT_S5_i,@function
_Z24warp_reduce_valid_kernelI6__halfLj64ELj1EENSt9enable_ifIXsr10test_utilsE35device_test_enabled_for_warp_size_vIXT1_EEEvE4typeEPT_S5_i: ; @_Z24warp_reduce_valid_kernelI6__halfLj64ELj1EENSt9enable_ifIXsr10test_utilsE35device_test_enabled_for_warp_size_vIXT1_EEEvE4typeEPT_S5_i
; %bb.0:
	s_load_dword s7, s[4:5], 0x24
	s_load_dwordx4 s[0:3], s[4:5], 0x0
	v_mov_b32_e32 v1, 0
	s_waitcnt lgkmcnt(0)
	s_and_b32 s4, s7, 0xffff
	s_mul_i32 s6, s6, s4
	v_add_u32_e32 v0, s6, v0
	v_lshlrev_b64 v[0:1], 1, v[0:1]
	v_mov_b32_e32 v3, s1
	v_add_co_u32_e32 v2, vcc, s0, v0
	v_addc_co_u32_e32 v3, vcc, v3, v1, vcc
	global_load_ushort v2, v[2:3], off
	v_mov_b32_e32 v3, s3
	v_add_co_u32_e32 v0, vcc, s2, v0
	v_addc_co_u32_e32 v1, vcc, v3, v1, vcc
	s_waitcnt vmcnt(0)
	global_store_short v[0:1], v2, off
	s_endpgm
	.section	.rodata,"a",@progbits
	.p2align	6, 0x0
	.amdhsa_kernel _Z24warp_reduce_valid_kernelI6__halfLj64ELj1EENSt9enable_ifIXsr10test_utilsE35device_test_enabled_for_warp_size_vIXT1_EEEvE4typeEPT_S5_i
		.amdhsa_group_segment_fixed_size 0
		.amdhsa_private_segment_fixed_size 0
		.amdhsa_kernarg_size 280
		.amdhsa_user_sgpr_count 6
		.amdhsa_user_sgpr_private_segment_buffer 1
		.amdhsa_user_sgpr_dispatch_ptr 0
		.amdhsa_user_sgpr_queue_ptr 0
		.amdhsa_user_sgpr_kernarg_segment_ptr 1
		.amdhsa_user_sgpr_dispatch_id 0
		.amdhsa_user_sgpr_flat_scratch_init 0
		.amdhsa_user_sgpr_kernarg_preload_length 0
		.amdhsa_user_sgpr_kernarg_preload_offset 0
		.amdhsa_user_sgpr_private_segment_size 0
		.amdhsa_uses_dynamic_stack 0
		.amdhsa_system_sgpr_private_segment_wavefront_offset 0
		.amdhsa_system_sgpr_workgroup_id_x 1
		.amdhsa_system_sgpr_workgroup_id_y 0
		.amdhsa_system_sgpr_workgroup_id_z 0
		.amdhsa_system_sgpr_workgroup_info 0
		.amdhsa_system_vgpr_workitem_id 0
		.amdhsa_next_free_vgpr 4
		.amdhsa_next_free_sgpr 8
		.amdhsa_accum_offset 4
		.amdhsa_reserve_vcc 1
		.amdhsa_reserve_flat_scratch 0
		.amdhsa_float_round_mode_32 0
		.amdhsa_float_round_mode_16_64 0
		.amdhsa_float_denorm_mode_32 3
		.amdhsa_float_denorm_mode_16_64 3
		.amdhsa_dx10_clamp 1
		.amdhsa_ieee_mode 1
		.amdhsa_fp16_overflow 0
		.amdhsa_tg_split 0
		.amdhsa_exception_fp_ieee_invalid_op 0
		.amdhsa_exception_fp_denorm_src 0
		.amdhsa_exception_fp_ieee_div_zero 0
		.amdhsa_exception_fp_ieee_overflow 0
		.amdhsa_exception_fp_ieee_underflow 0
		.amdhsa_exception_fp_ieee_inexact 0
		.amdhsa_exception_int_div_zero 0
	.end_amdhsa_kernel
	.section	.text._Z24warp_reduce_valid_kernelI6__halfLj64ELj1EENSt9enable_ifIXsr10test_utilsE35device_test_enabled_for_warp_size_vIXT1_EEEvE4typeEPT_S5_i,"axG",@progbits,_Z24warp_reduce_valid_kernelI6__halfLj64ELj1EENSt9enable_ifIXsr10test_utilsE35device_test_enabled_for_warp_size_vIXT1_EEEvE4typeEPT_S5_i,comdat
.Lfunc_end105:
	.size	_Z24warp_reduce_valid_kernelI6__halfLj64ELj1EENSt9enable_ifIXsr10test_utilsE35device_test_enabled_for_warp_size_vIXT1_EEEvE4typeEPT_S5_i, .Lfunc_end105-_Z24warp_reduce_valid_kernelI6__halfLj64ELj1EENSt9enable_ifIXsr10test_utilsE35device_test_enabled_for_warp_size_vIXT1_EEEvE4typeEPT_S5_i
                                        ; -- End function
	.section	.AMDGPU.csdata,"",@progbits
; Kernel info:
; codeLenInByte = 96
; NumSgprs: 12
; NumVgprs: 4
; NumAgprs: 0
; TotalNumVgprs: 4
; ScratchSize: 0
; MemoryBound: 0
; FloatMode: 240
; IeeeMode: 1
; LDSByteSize: 0 bytes/workgroup (compile time only)
; SGPRBlocks: 1
; VGPRBlocks: 0
; NumSGPRsForWavesPerEU: 12
; NumVGPRsForWavesPerEU: 4
; AccumOffset: 4
; Occupancy: 8
; WaveLimiterHint : 0
; COMPUTE_PGM_RSRC2:SCRATCH_EN: 0
; COMPUTE_PGM_RSRC2:USER_SGPR: 6
; COMPUTE_PGM_RSRC2:TRAP_HANDLER: 0
; COMPUTE_PGM_RSRC2:TGID_X_EN: 1
; COMPUTE_PGM_RSRC2:TGID_Y_EN: 0
; COMPUTE_PGM_RSRC2:TGID_Z_EN: 0
; COMPUTE_PGM_RSRC2:TIDIG_COMP_CNT: 0
; COMPUTE_PGM_RSRC3_GFX90A:ACCUM_OFFSET: 0
; COMPUTE_PGM_RSRC3_GFX90A:TG_SPLIT: 0
	.section	.text._Z24warp_reduce_valid_kernelIfLj256ELj64EENSt9enable_ifIXsr10test_utilsE35device_test_enabled_for_warp_size_vIXT1_EEEvE4typeEPT_S4_i,"axG",@progbits,_Z24warp_reduce_valid_kernelIfLj256ELj64EENSt9enable_ifIXsr10test_utilsE35device_test_enabled_for_warp_size_vIXT1_EEEvE4typeEPT_S4_i,comdat
	.protected	_Z24warp_reduce_valid_kernelIfLj256ELj64EENSt9enable_ifIXsr10test_utilsE35device_test_enabled_for_warp_size_vIXT1_EEEvE4typeEPT_S4_i ; -- Begin function _Z24warp_reduce_valid_kernelIfLj256ELj64EENSt9enable_ifIXsr10test_utilsE35device_test_enabled_for_warp_size_vIXT1_EEEvE4typeEPT_S4_i
	.globl	_Z24warp_reduce_valid_kernelIfLj256ELj64EENSt9enable_ifIXsr10test_utilsE35device_test_enabled_for_warp_size_vIXT1_EEEvE4typeEPT_S4_i
	.p2align	8
	.type	_Z24warp_reduce_valid_kernelIfLj256ELj64EENSt9enable_ifIXsr10test_utilsE35device_test_enabled_for_warp_size_vIXT1_EEEvE4typeEPT_S4_i,@function
_Z24warp_reduce_valid_kernelIfLj256ELj64EENSt9enable_ifIXsr10test_utilsE35device_test_enabled_for_warp_size_vIXT1_EEEvE4typeEPT_S4_i: ; @_Z24warp_reduce_valid_kernelIfLj256ELj64EENSt9enable_ifIXsr10test_utilsE35device_test_enabled_for_warp_size_vIXT1_EEEvE4typeEPT_S4_i
; %bb.0:
	s_load_dword s8, s[4:5], 0x24
	s_load_dwordx4 s[0:3], s[4:5], 0x0
	s_load_dword s7, s[4:5], 0x10
	v_mov_b32_e32 v3, 0
	s_waitcnt lgkmcnt(0)
	s_and_b32 s4, s8, 0xffff
	s_mul_i32 s6, s6, s4
	v_add_u32_e32 v2, s6, v0
	v_lshlrev_b64 v[4:5], 2, v[2:3]
	v_mov_b32_e32 v1, s1
	v_add_co_u32_e32 v4, vcc, s0, v4
	v_addc_co_u32_e32 v5, vcc, v1, v5, vcc
	global_load_dword v3, v[4:5], off
	v_mbcnt_lo_u32_b32 v1, -1, 0
	v_mbcnt_hi_u32_b32 v1, -1, v1
	v_and_b32_e32 v4, 63, v1
	v_cmp_ne_u32_e32 vcc, 63, v4
	v_addc_co_u32_e32 v9, vcc, 0, v1, vcc
	v_lshlrev_b32_e32 v9, 2, v9
	v_cmp_gt_u32_e32 vcc, 62, v4
	v_add_u32_e32 v5, 1, v1
	v_cndmask_b32_e64 v10, 0, 1, vcc
	v_lshlrev_b32_e32 v10, 1, v10
	v_cmp_gt_u32_e32 vcc, s7, v5
	v_add_lshl_u32 v10, v10, v1, 2
	v_add_u32_e32 v6, 2, v1
	v_add_u32_e32 v7, 4, v1
	v_add_u32_e32 v8, 8, v1
	v_and_b32_e32 v0, 63, v0
	s_waitcnt vmcnt(0)
	ds_bpermute_b32 v9, v9, v3
	s_waitcnt lgkmcnt(0)
	v_add_f32_e32 v9, v3, v9
	v_cndmask_b32_e32 v3, v3, v9, vcc
	ds_bpermute_b32 v5, v10, v3
	v_cmp_gt_u32_e32 vcc, 60, v4
	v_cndmask_b32_e64 v9, 0, 1, vcc
	v_lshlrev_b32_e32 v9, 2, v9
	v_cmp_gt_u32_e32 vcc, s7, v6
	s_waitcnt lgkmcnt(0)
	v_add_f32_e32 v5, v3, v5
	v_add_lshl_u32 v9, v9, v1, 2
	v_cndmask_b32_e32 v3, v3, v5, vcc
	ds_bpermute_b32 v5, v9, v3
	v_cmp_gt_u32_e32 vcc, 56, v4
	v_cndmask_b32_e64 v6, 0, 1, vcc
	v_lshlrev_b32_e32 v6, 3, v6
	v_cmp_gt_u32_e32 vcc, s7, v7
	s_waitcnt lgkmcnt(0)
	v_add_f32_e32 v5, v3, v5
	v_add_lshl_u32 v6, v6, v1, 2
	;; [unrolled: 9-line block ×3, first 2 shown]
	v_cndmask_b32_e32 v3, v3, v5, vcc
	ds_bpermute_b32 v5, v6, v3
	v_cmp_gt_u32_e32 vcc, 32, v4
	v_add_u32_e32 v6, 16, v1
	v_cndmask_b32_e64 v4, 0, 1, vcc
	v_lshlrev_b32_e32 v4, 5, v4
	s_waitcnt lgkmcnt(0)
	v_add_f32_e32 v5, v3, v5
	v_cmp_gt_u32_e32 vcc, s7, v6
	v_cndmask_b32_e32 v3, v3, v5, vcc
	v_add_lshl_u32 v4, v4, v1, 2
	ds_bpermute_b32 v4, v4, v3
	v_cmp_eq_u32_e32 vcc, 0, v0
	s_and_saveexec_b64 s[0:1], vcc
	s_cbranch_execz .LBB106_2
; %bb.1:
	v_add_u32_e32 v1, 32, v1
	v_lshrrev_b32_e32 v0, 4, v2
	s_waitcnt lgkmcnt(0)
	v_add_f32_e32 v2, v3, v4
	v_cmp_gt_u32_e32 vcc, s7, v1
	v_and_b32_e32 v0, 0xffffffc, v0
	v_cndmask_b32_e32 v1, v3, v2, vcc
	global_store_dword v0, v1, s[2:3]
.LBB106_2:
	s_endpgm
	.section	.rodata,"a",@progbits
	.p2align	6, 0x0
	.amdhsa_kernel _Z24warp_reduce_valid_kernelIfLj256ELj64EENSt9enable_ifIXsr10test_utilsE35device_test_enabled_for_warp_size_vIXT1_EEEvE4typeEPT_S4_i
		.amdhsa_group_segment_fixed_size 0
		.amdhsa_private_segment_fixed_size 0
		.amdhsa_kernarg_size 280
		.amdhsa_user_sgpr_count 6
		.amdhsa_user_sgpr_private_segment_buffer 1
		.amdhsa_user_sgpr_dispatch_ptr 0
		.amdhsa_user_sgpr_queue_ptr 0
		.amdhsa_user_sgpr_kernarg_segment_ptr 1
		.amdhsa_user_sgpr_dispatch_id 0
		.amdhsa_user_sgpr_flat_scratch_init 0
		.amdhsa_user_sgpr_kernarg_preload_length 0
		.amdhsa_user_sgpr_kernarg_preload_offset 0
		.amdhsa_user_sgpr_private_segment_size 0
		.amdhsa_uses_dynamic_stack 0
		.amdhsa_system_sgpr_private_segment_wavefront_offset 0
		.amdhsa_system_sgpr_workgroup_id_x 1
		.amdhsa_system_sgpr_workgroup_id_y 0
		.amdhsa_system_sgpr_workgroup_id_z 0
		.amdhsa_system_sgpr_workgroup_info 0
		.amdhsa_system_vgpr_workitem_id 0
		.amdhsa_next_free_vgpr 11
		.amdhsa_next_free_sgpr 9
		.amdhsa_accum_offset 12
		.amdhsa_reserve_vcc 1
		.amdhsa_reserve_flat_scratch 0
		.amdhsa_float_round_mode_32 0
		.amdhsa_float_round_mode_16_64 0
		.amdhsa_float_denorm_mode_32 3
		.amdhsa_float_denorm_mode_16_64 3
		.amdhsa_dx10_clamp 1
		.amdhsa_ieee_mode 1
		.amdhsa_fp16_overflow 0
		.amdhsa_tg_split 0
		.amdhsa_exception_fp_ieee_invalid_op 0
		.amdhsa_exception_fp_denorm_src 0
		.amdhsa_exception_fp_ieee_div_zero 0
		.amdhsa_exception_fp_ieee_overflow 0
		.amdhsa_exception_fp_ieee_underflow 0
		.amdhsa_exception_fp_ieee_inexact 0
		.amdhsa_exception_int_div_zero 0
	.end_amdhsa_kernel
	.section	.text._Z24warp_reduce_valid_kernelIfLj256ELj64EENSt9enable_ifIXsr10test_utilsE35device_test_enabled_for_warp_size_vIXT1_EEEvE4typeEPT_S4_i,"axG",@progbits,_Z24warp_reduce_valid_kernelIfLj256ELj64EENSt9enable_ifIXsr10test_utilsE35device_test_enabled_for_warp_size_vIXT1_EEEvE4typeEPT_S4_i,comdat
.Lfunc_end106:
	.size	_Z24warp_reduce_valid_kernelIfLj256ELj64EENSt9enable_ifIXsr10test_utilsE35device_test_enabled_for_warp_size_vIXT1_EEEvE4typeEPT_S4_i, .Lfunc_end106-_Z24warp_reduce_valid_kernelIfLj256ELj64EENSt9enable_ifIXsr10test_utilsE35device_test_enabled_for_warp_size_vIXT1_EEEvE4typeEPT_S4_i
                                        ; -- End function
	.section	.AMDGPU.csdata,"",@progbits
; Kernel info:
; codeLenInByte = 440
; NumSgprs: 13
; NumVgprs: 11
; NumAgprs: 0
; TotalNumVgprs: 11
; ScratchSize: 0
; MemoryBound: 0
; FloatMode: 240
; IeeeMode: 1
; LDSByteSize: 0 bytes/workgroup (compile time only)
; SGPRBlocks: 1
; VGPRBlocks: 1
; NumSGPRsForWavesPerEU: 13
; NumVGPRsForWavesPerEU: 11
; AccumOffset: 12
; Occupancy: 8
; WaveLimiterHint : 0
; COMPUTE_PGM_RSRC2:SCRATCH_EN: 0
; COMPUTE_PGM_RSRC2:USER_SGPR: 6
; COMPUTE_PGM_RSRC2:TRAP_HANDLER: 0
; COMPUTE_PGM_RSRC2:TGID_X_EN: 1
; COMPUTE_PGM_RSRC2:TGID_Y_EN: 0
; COMPUTE_PGM_RSRC2:TGID_Z_EN: 0
; COMPUTE_PGM_RSRC2:TIDIG_COMP_CNT: 0
; COMPUTE_PGM_RSRC3_GFX90A:ACCUM_OFFSET: 2
; COMPUTE_PGM_RSRC3_GFX90A:TG_SPLIT: 0
	.section	.text._Z24warp_reduce_valid_kernelIfLj128ELj32EENSt9enable_ifIXsr10test_utilsE35device_test_enabled_for_warp_size_vIXT1_EEEvE4typeEPT_S4_i,"axG",@progbits,_Z24warp_reduce_valid_kernelIfLj128ELj32EENSt9enable_ifIXsr10test_utilsE35device_test_enabled_for_warp_size_vIXT1_EEEvE4typeEPT_S4_i,comdat
	.protected	_Z24warp_reduce_valid_kernelIfLj128ELj32EENSt9enable_ifIXsr10test_utilsE35device_test_enabled_for_warp_size_vIXT1_EEEvE4typeEPT_S4_i ; -- Begin function _Z24warp_reduce_valid_kernelIfLj128ELj32EENSt9enable_ifIXsr10test_utilsE35device_test_enabled_for_warp_size_vIXT1_EEEvE4typeEPT_S4_i
	.globl	_Z24warp_reduce_valid_kernelIfLj128ELj32EENSt9enable_ifIXsr10test_utilsE35device_test_enabled_for_warp_size_vIXT1_EEEvE4typeEPT_S4_i
	.p2align	8
	.type	_Z24warp_reduce_valid_kernelIfLj128ELj32EENSt9enable_ifIXsr10test_utilsE35device_test_enabled_for_warp_size_vIXT1_EEEvE4typeEPT_S4_i,@function
_Z24warp_reduce_valid_kernelIfLj128ELj32EENSt9enable_ifIXsr10test_utilsE35device_test_enabled_for_warp_size_vIXT1_EEEvE4typeEPT_S4_i: ; @_Z24warp_reduce_valid_kernelIfLj128ELj32EENSt9enable_ifIXsr10test_utilsE35device_test_enabled_for_warp_size_vIXT1_EEEvE4typeEPT_S4_i
; %bb.0:
	s_load_dword s8, s[4:5], 0x24
	s_load_dwordx4 s[0:3], s[4:5], 0x0
	s_load_dword s7, s[4:5], 0x10
	v_mov_b32_e32 v3, 0
	s_waitcnt lgkmcnt(0)
	s_and_b32 s4, s8, 0xffff
	s_mul_i32 s6, s6, s4
	v_add_u32_e32 v2, s6, v0
	v_lshlrev_b64 v[4:5], 2, v[2:3]
	v_mov_b32_e32 v1, s1
	v_add_co_u32_e32 v4, vcc, s0, v4
	v_addc_co_u32_e32 v5, vcc, v1, v5, vcc
	global_load_dword v1, v[4:5], off
	v_mbcnt_lo_u32_b32 v3, -1, 0
	v_mbcnt_hi_u32_b32 v5, -1, v3
	v_and_b32_e32 v3, 31, v5
	v_cmp_ne_u32_e32 vcc, 31, v3
	v_addc_co_u32_e32 v6, vcc, 0, v5, vcc
	v_lshlrev_b32_e32 v6, 2, v6
	v_cmp_gt_u32_e32 vcc, 30, v3
	v_add_u32_e32 v4, 1, v3
	v_cndmask_b32_e64 v8, 0, 1, vcc
	v_lshlrev_b32_e32 v8, 1, v8
	v_cmp_gt_u32_e32 vcc, s7, v4
	v_add_lshl_u32 v8, v8, v5, 2
	v_cmp_gt_u32_e64 s[0:1], 28, v3
	v_add_u32_e32 v7, 2, v3
	v_add_u32_e32 v9, 4, v3
	v_and_b32_e32 v0, 31, v0
	s_waitcnt vmcnt(0)
	ds_bpermute_b32 v6, v6, v1
	s_waitcnt lgkmcnt(0)
	v_add_f32_e32 v6, v1, v6
	v_cndmask_b32_e32 v4, v1, v6, vcc
	ds_bpermute_b32 v6, v8, v4
	v_cndmask_b32_e64 v8, 0, 1, s[0:1]
	v_lshlrev_b32_e32 v8, 2, v8
	v_cmp_gt_u32_e64 s[0:1], s7, v7
	v_add_lshl_u32 v8, v8, v5, 2
	s_waitcnt lgkmcnt(0)
	v_add_f32_e32 v6, v4, v6
	v_cndmask_b32_e64 v4, v4, v6, s[0:1]
	ds_bpermute_b32 v6, v8, v4
	v_cmp_gt_u32_e64 s[0:1], 24, v3
	v_cndmask_b32_e64 v7, 0, 1, s[0:1]
	v_lshlrev_b32_e32 v7, 3, v7
	v_cmp_gt_u32_e64 s[0:1], s7, v9
	s_waitcnt lgkmcnt(0)
	v_add_f32_e32 v6, v4, v6
	v_add_lshl_u32 v7, v7, v5, 2
	v_cndmask_b32_e64 v4, v4, v6, s[0:1]
	ds_bpermute_b32 v6, v7, v4
	v_cmp_gt_u32_e64 s[0:1], 16, v3
	v_add_u32_e32 v7, 8, v3
	v_cndmask_b32_e64 v8, 0, 1, s[0:1]
	v_lshlrev_b32_e32 v8, 4, v8
	s_waitcnt lgkmcnt(0)
	v_add_f32_e32 v6, v4, v6
	v_cmp_gt_u32_e64 s[0:1], s7, v7
	v_cndmask_b32_e64 v4, v4, v6, s[0:1]
	v_add_lshl_u32 v5, v8, v5, 2
	ds_bpermute_b32 v5, v5, v4
	v_cmp_eq_u32_e64 s[0:1], 0, v0
	s_and_saveexec_b64 s[4:5], s[0:1]
	s_cbranch_execz .LBB107_2
; %bb.1:
	v_lshrrev_b32_e32 v0, 3, v2
	v_add_u32_e32 v2, 16, v3
	s_waitcnt lgkmcnt(0)
	v_add_f32_e32 v3, v4, v5
	v_cmp_gt_u32_e64 s[0:1], s7, v2
	v_cndmask_b32_e64 v2, v4, v3, s[0:1]
	v_and_b32_e32 v0, 0x1ffffffc, v0
	v_cndmask_b32_e32 v1, v1, v2, vcc
	global_store_dword v0, v1, s[2:3]
.LBB107_2:
	s_endpgm
	.section	.rodata,"a",@progbits
	.p2align	6, 0x0
	.amdhsa_kernel _Z24warp_reduce_valid_kernelIfLj128ELj32EENSt9enable_ifIXsr10test_utilsE35device_test_enabled_for_warp_size_vIXT1_EEEvE4typeEPT_S4_i
		.amdhsa_group_segment_fixed_size 0
		.amdhsa_private_segment_fixed_size 0
		.amdhsa_kernarg_size 280
		.amdhsa_user_sgpr_count 6
		.amdhsa_user_sgpr_private_segment_buffer 1
		.amdhsa_user_sgpr_dispatch_ptr 0
		.amdhsa_user_sgpr_queue_ptr 0
		.amdhsa_user_sgpr_kernarg_segment_ptr 1
		.amdhsa_user_sgpr_dispatch_id 0
		.amdhsa_user_sgpr_flat_scratch_init 0
		.amdhsa_user_sgpr_kernarg_preload_length 0
		.amdhsa_user_sgpr_kernarg_preload_offset 0
		.amdhsa_user_sgpr_private_segment_size 0
		.amdhsa_uses_dynamic_stack 0
		.amdhsa_system_sgpr_private_segment_wavefront_offset 0
		.amdhsa_system_sgpr_workgroup_id_x 1
		.amdhsa_system_sgpr_workgroup_id_y 0
		.amdhsa_system_sgpr_workgroup_id_z 0
		.amdhsa_system_sgpr_workgroup_info 0
		.amdhsa_system_vgpr_workitem_id 0
		.amdhsa_next_free_vgpr 10
		.amdhsa_next_free_sgpr 9
		.amdhsa_accum_offset 12
		.amdhsa_reserve_vcc 1
		.amdhsa_reserve_flat_scratch 0
		.amdhsa_float_round_mode_32 0
		.amdhsa_float_round_mode_16_64 0
		.amdhsa_float_denorm_mode_32 3
		.amdhsa_float_denorm_mode_16_64 3
		.amdhsa_dx10_clamp 1
		.amdhsa_ieee_mode 1
		.amdhsa_fp16_overflow 0
		.amdhsa_tg_split 0
		.amdhsa_exception_fp_ieee_invalid_op 0
		.amdhsa_exception_fp_denorm_src 0
		.amdhsa_exception_fp_ieee_div_zero 0
		.amdhsa_exception_fp_ieee_overflow 0
		.amdhsa_exception_fp_ieee_underflow 0
		.amdhsa_exception_fp_ieee_inexact 0
		.amdhsa_exception_int_div_zero 0
	.end_amdhsa_kernel
	.section	.text._Z24warp_reduce_valid_kernelIfLj128ELj32EENSt9enable_ifIXsr10test_utilsE35device_test_enabled_for_warp_size_vIXT1_EEEvE4typeEPT_S4_i,"axG",@progbits,_Z24warp_reduce_valid_kernelIfLj128ELj32EENSt9enable_ifIXsr10test_utilsE35device_test_enabled_for_warp_size_vIXT1_EEEvE4typeEPT_S4_i,comdat
.Lfunc_end107:
	.size	_Z24warp_reduce_valid_kernelIfLj128ELj32EENSt9enable_ifIXsr10test_utilsE35device_test_enabled_for_warp_size_vIXT1_EEEvE4typeEPT_S4_i, .Lfunc_end107-_Z24warp_reduce_valid_kernelIfLj128ELj32EENSt9enable_ifIXsr10test_utilsE35device_test_enabled_for_warp_size_vIXT1_EEEvE4typeEPT_S4_i
                                        ; -- End function
	.section	.AMDGPU.csdata,"",@progbits
; Kernel info:
; codeLenInByte = 440
; NumSgprs: 13
; NumVgprs: 10
; NumAgprs: 0
; TotalNumVgprs: 10
; ScratchSize: 0
; MemoryBound: 0
; FloatMode: 240
; IeeeMode: 1
; LDSByteSize: 0 bytes/workgroup (compile time only)
; SGPRBlocks: 1
; VGPRBlocks: 1
; NumSGPRsForWavesPerEU: 13
; NumVGPRsForWavesPerEU: 10
; AccumOffset: 12
; Occupancy: 8
; WaveLimiterHint : 0
; COMPUTE_PGM_RSRC2:SCRATCH_EN: 0
; COMPUTE_PGM_RSRC2:USER_SGPR: 6
; COMPUTE_PGM_RSRC2:TRAP_HANDLER: 0
; COMPUTE_PGM_RSRC2:TGID_X_EN: 1
; COMPUTE_PGM_RSRC2:TGID_Y_EN: 0
; COMPUTE_PGM_RSRC2:TGID_Z_EN: 0
; COMPUTE_PGM_RSRC2:TIDIG_COMP_CNT: 0
; COMPUTE_PGM_RSRC3_GFX90A:ACCUM_OFFSET: 2
; COMPUTE_PGM_RSRC3_GFX90A:TG_SPLIT: 0
	.section	.text._Z24warp_reduce_valid_kernelIfLj64ELj16EENSt9enable_ifIXsr10test_utilsE35device_test_enabled_for_warp_size_vIXT1_EEEvE4typeEPT_S4_i,"axG",@progbits,_Z24warp_reduce_valid_kernelIfLj64ELj16EENSt9enable_ifIXsr10test_utilsE35device_test_enabled_for_warp_size_vIXT1_EEEvE4typeEPT_S4_i,comdat
	.protected	_Z24warp_reduce_valid_kernelIfLj64ELj16EENSt9enable_ifIXsr10test_utilsE35device_test_enabled_for_warp_size_vIXT1_EEEvE4typeEPT_S4_i ; -- Begin function _Z24warp_reduce_valid_kernelIfLj64ELj16EENSt9enable_ifIXsr10test_utilsE35device_test_enabled_for_warp_size_vIXT1_EEEvE4typeEPT_S4_i
	.globl	_Z24warp_reduce_valid_kernelIfLj64ELj16EENSt9enable_ifIXsr10test_utilsE35device_test_enabled_for_warp_size_vIXT1_EEEvE4typeEPT_S4_i
	.p2align	8
	.type	_Z24warp_reduce_valid_kernelIfLj64ELj16EENSt9enable_ifIXsr10test_utilsE35device_test_enabled_for_warp_size_vIXT1_EEEvE4typeEPT_S4_i,@function
_Z24warp_reduce_valid_kernelIfLj64ELj16EENSt9enable_ifIXsr10test_utilsE35device_test_enabled_for_warp_size_vIXT1_EEEvE4typeEPT_S4_i: ; @_Z24warp_reduce_valid_kernelIfLj64ELj16EENSt9enable_ifIXsr10test_utilsE35device_test_enabled_for_warp_size_vIXT1_EEEvE4typeEPT_S4_i
; %bb.0:
	s_load_dword s8, s[4:5], 0x24
	s_load_dwordx4 s[0:3], s[4:5], 0x0
	s_load_dword s7, s[4:5], 0x10
	v_mov_b32_e32 v3, 0
	s_waitcnt lgkmcnt(0)
	s_and_b32 s4, s8, 0xffff
	s_mul_i32 s6, s6, s4
	v_add_u32_e32 v2, s6, v0
	v_lshlrev_b64 v[4:5], 2, v[2:3]
	v_mov_b32_e32 v1, s1
	v_add_co_u32_e32 v4, vcc, s0, v4
	v_addc_co_u32_e32 v5, vcc, v1, v5, vcc
	global_load_dword v1, v[4:5], off
	v_mbcnt_lo_u32_b32 v3, -1, 0
	v_mbcnt_hi_u32_b32 v5, -1, v3
	v_and_b32_e32 v3, 15, v5
	v_cmp_ne_u32_e32 vcc, 15, v3
	v_addc_co_u32_e32 v6, vcc, 0, v5, vcc
	v_lshlrev_b32_e32 v6, 2, v6
	v_cmp_gt_u32_e32 vcc, 14, v3
	v_add_u32_e32 v4, 1, v3
	v_cndmask_b32_e64 v8, 0, 1, vcc
	v_lshlrev_b32_e32 v8, 1, v8
	v_cmp_gt_u32_e32 vcc, s7, v4
	v_add_lshl_u32 v8, v8, v5, 2
	v_cmp_gt_u32_e64 s[0:1], 12, v3
	v_add_u32_e32 v7, 2, v3
	v_and_b32_e32 v0, 15, v0
	s_waitcnt vmcnt(0)
	ds_bpermute_b32 v6, v6, v1
	s_waitcnt lgkmcnt(0)
	v_add_f32_e32 v6, v1, v6
	v_cndmask_b32_e32 v4, v1, v6, vcc
	ds_bpermute_b32 v6, v8, v4
	v_cndmask_b32_e64 v8, 0, 1, s[0:1]
	v_lshlrev_b32_e32 v8, 2, v8
	v_cmp_gt_u32_e64 s[0:1], s7, v7
	v_add_lshl_u32 v8, v8, v5, 2
	s_waitcnt lgkmcnt(0)
	v_add_f32_e32 v6, v4, v6
	v_cndmask_b32_e64 v4, v4, v6, s[0:1]
	ds_bpermute_b32 v6, v8, v4
	v_cmp_gt_u32_e64 s[0:1], 8, v3
	v_add_u32_e32 v7, 4, v3
	v_cndmask_b32_e64 v8, 0, 1, s[0:1]
	v_lshlrev_b32_e32 v8, 3, v8
	s_waitcnt lgkmcnt(0)
	v_add_f32_e32 v6, v4, v6
	v_cmp_gt_u32_e64 s[0:1], s7, v7
	v_cndmask_b32_e64 v4, v4, v6, s[0:1]
	v_add_lshl_u32 v5, v8, v5, 2
	ds_bpermute_b32 v5, v5, v4
	v_cmp_eq_u32_e64 s[0:1], 0, v0
	s_and_saveexec_b64 s[4:5], s[0:1]
	s_cbranch_execz .LBB108_2
; %bb.1:
	v_lshrrev_b32_e32 v0, 2, v2
	v_add_u32_e32 v2, 8, v3
	s_waitcnt lgkmcnt(0)
	v_add_f32_e32 v3, v4, v5
	v_cmp_gt_u32_e64 s[0:1], s7, v2
	v_cndmask_b32_e64 v2, v4, v3, s[0:1]
	v_and_b32_e32 v0, 0x3ffffffc, v0
	v_cndmask_b32_e32 v1, v1, v2, vcc
	global_store_dword v0, v1, s[2:3]
.LBB108_2:
	s_endpgm
	.section	.rodata,"a",@progbits
	.p2align	6, 0x0
	.amdhsa_kernel _Z24warp_reduce_valid_kernelIfLj64ELj16EENSt9enable_ifIXsr10test_utilsE35device_test_enabled_for_warp_size_vIXT1_EEEvE4typeEPT_S4_i
		.amdhsa_group_segment_fixed_size 0
		.amdhsa_private_segment_fixed_size 0
		.amdhsa_kernarg_size 280
		.amdhsa_user_sgpr_count 6
		.amdhsa_user_sgpr_private_segment_buffer 1
		.amdhsa_user_sgpr_dispatch_ptr 0
		.amdhsa_user_sgpr_queue_ptr 0
		.amdhsa_user_sgpr_kernarg_segment_ptr 1
		.amdhsa_user_sgpr_dispatch_id 0
		.amdhsa_user_sgpr_flat_scratch_init 0
		.amdhsa_user_sgpr_kernarg_preload_length 0
		.amdhsa_user_sgpr_kernarg_preload_offset 0
		.amdhsa_user_sgpr_private_segment_size 0
		.amdhsa_uses_dynamic_stack 0
		.amdhsa_system_sgpr_private_segment_wavefront_offset 0
		.amdhsa_system_sgpr_workgroup_id_x 1
		.amdhsa_system_sgpr_workgroup_id_y 0
		.amdhsa_system_sgpr_workgroup_id_z 0
		.amdhsa_system_sgpr_workgroup_info 0
		.amdhsa_system_vgpr_workitem_id 0
		.amdhsa_next_free_vgpr 9
		.amdhsa_next_free_sgpr 9
		.amdhsa_accum_offset 12
		.amdhsa_reserve_vcc 1
		.amdhsa_reserve_flat_scratch 0
		.amdhsa_float_round_mode_32 0
		.amdhsa_float_round_mode_16_64 0
		.amdhsa_float_denorm_mode_32 3
		.amdhsa_float_denorm_mode_16_64 3
		.amdhsa_dx10_clamp 1
		.amdhsa_ieee_mode 1
		.amdhsa_fp16_overflow 0
		.amdhsa_tg_split 0
		.amdhsa_exception_fp_ieee_invalid_op 0
		.amdhsa_exception_fp_denorm_src 0
		.amdhsa_exception_fp_ieee_div_zero 0
		.amdhsa_exception_fp_ieee_overflow 0
		.amdhsa_exception_fp_ieee_underflow 0
		.amdhsa_exception_fp_ieee_inexact 0
		.amdhsa_exception_int_div_zero 0
	.end_amdhsa_kernel
	.section	.text._Z24warp_reduce_valid_kernelIfLj64ELj16EENSt9enable_ifIXsr10test_utilsE35device_test_enabled_for_warp_size_vIXT1_EEEvE4typeEPT_S4_i,"axG",@progbits,_Z24warp_reduce_valid_kernelIfLj64ELj16EENSt9enable_ifIXsr10test_utilsE35device_test_enabled_for_warp_size_vIXT1_EEEvE4typeEPT_S4_i,comdat
.Lfunc_end108:
	.size	_Z24warp_reduce_valid_kernelIfLj64ELj16EENSt9enable_ifIXsr10test_utilsE35device_test_enabled_for_warp_size_vIXT1_EEEvE4typeEPT_S4_i, .Lfunc_end108-_Z24warp_reduce_valid_kernelIfLj64ELj16EENSt9enable_ifIXsr10test_utilsE35device_test_enabled_for_warp_size_vIXT1_EEEvE4typeEPT_S4_i
                                        ; -- End function
	.section	.AMDGPU.csdata,"",@progbits
; Kernel info:
; codeLenInByte = 376
; NumSgprs: 13
; NumVgprs: 9
; NumAgprs: 0
; TotalNumVgprs: 9
; ScratchSize: 0
; MemoryBound: 0
; FloatMode: 240
; IeeeMode: 1
; LDSByteSize: 0 bytes/workgroup (compile time only)
; SGPRBlocks: 1
; VGPRBlocks: 1
; NumSGPRsForWavesPerEU: 13
; NumVGPRsForWavesPerEU: 9
; AccumOffset: 12
; Occupancy: 8
; WaveLimiterHint : 0
; COMPUTE_PGM_RSRC2:SCRATCH_EN: 0
; COMPUTE_PGM_RSRC2:USER_SGPR: 6
; COMPUTE_PGM_RSRC2:TRAP_HANDLER: 0
; COMPUTE_PGM_RSRC2:TGID_X_EN: 1
; COMPUTE_PGM_RSRC2:TGID_Y_EN: 0
; COMPUTE_PGM_RSRC2:TGID_Z_EN: 0
; COMPUTE_PGM_RSRC2:TIDIG_COMP_CNT: 0
; COMPUTE_PGM_RSRC3_GFX90A:ACCUM_OFFSET: 2
; COMPUTE_PGM_RSRC3_GFX90A:TG_SPLIT: 0
	.section	.text._Z24warp_reduce_valid_kernelIfLj32ELj8EENSt9enable_ifIXsr10test_utilsE35device_test_enabled_for_warp_size_vIXT1_EEEvE4typeEPT_S4_i,"axG",@progbits,_Z24warp_reduce_valid_kernelIfLj32ELj8EENSt9enable_ifIXsr10test_utilsE35device_test_enabled_for_warp_size_vIXT1_EEEvE4typeEPT_S4_i,comdat
	.protected	_Z24warp_reduce_valid_kernelIfLj32ELj8EENSt9enable_ifIXsr10test_utilsE35device_test_enabled_for_warp_size_vIXT1_EEEvE4typeEPT_S4_i ; -- Begin function _Z24warp_reduce_valid_kernelIfLj32ELj8EENSt9enable_ifIXsr10test_utilsE35device_test_enabled_for_warp_size_vIXT1_EEEvE4typeEPT_S4_i
	.globl	_Z24warp_reduce_valid_kernelIfLj32ELj8EENSt9enable_ifIXsr10test_utilsE35device_test_enabled_for_warp_size_vIXT1_EEEvE4typeEPT_S4_i
	.p2align	8
	.type	_Z24warp_reduce_valid_kernelIfLj32ELj8EENSt9enable_ifIXsr10test_utilsE35device_test_enabled_for_warp_size_vIXT1_EEEvE4typeEPT_S4_i,@function
_Z24warp_reduce_valid_kernelIfLj32ELj8EENSt9enable_ifIXsr10test_utilsE35device_test_enabled_for_warp_size_vIXT1_EEEvE4typeEPT_S4_i: ; @_Z24warp_reduce_valid_kernelIfLj32ELj8EENSt9enable_ifIXsr10test_utilsE35device_test_enabled_for_warp_size_vIXT1_EEEvE4typeEPT_S4_i
; %bb.0:
	s_load_dword s8, s[4:5], 0x24
	s_load_dwordx4 s[0:3], s[4:5], 0x0
	s_load_dword s7, s[4:5], 0x10
	v_mov_b32_e32 v3, 0
	s_waitcnt lgkmcnt(0)
	s_and_b32 s4, s8, 0xffff
	s_mul_i32 s6, s6, s4
	v_add_u32_e32 v2, s6, v0
	v_lshlrev_b64 v[4:5], 2, v[2:3]
	v_mov_b32_e32 v1, s1
	v_add_co_u32_e32 v4, vcc, s0, v4
	v_addc_co_u32_e32 v5, vcc, v1, v5, vcc
	global_load_dword v1, v[4:5], off
	v_mbcnt_lo_u32_b32 v3, -1, 0
	v_mbcnt_hi_u32_b32 v5, -1, v3
	v_and_b32_e32 v3, 7, v5
	v_cmp_ne_u32_e32 vcc, 7, v3
	v_addc_co_u32_e32 v6, vcc, 0, v5, vcc
	v_lshlrev_b32_e32 v6, 2, v6
	v_cmp_gt_u32_e32 vcc, 6, v3
	v_add_u32_e32 v4, 1, v3
	v_cndmask_b32_e64 v7, 0, 1, vcc
	v_lshlrev_b32_e32 v7, 1, v7
	v_cmp_gt_u32_e32 vcc, s7, v4
	v_add_lshl_u32 v7, v7, v5, 2
	v_cmp_gt_u32_e64 s[0:1], 4, v3
	v_cndmask_b32_e64 v8, 0, 1, s[0:1]
	v_lshlrev_b32_e32 v8, 2, v8
	v_add_lshl_u32 v5, v8, v5, 2
	v_and_b32_e32 v0, 7, v0
	s_waitcnt vmcnt(0)
	ds_bpermute_b32 v6, v6, v1
	s_waitcnt lgkmcnt(0)
	v_add_f32_e32 v6, v1, v6
	v_cndmask_b32_e32 v4, v1, v6, vcc
	ds_bpermute_b32 v6, v7, v4
	v_add_u32_e32 v7, 2, v3
	v_cmp_gt_u32_e64 s[0:1], s7, v7
	s_waitcnt lgkmcnt(0)
	v_add_f32_e32 v6, v4, v6
	v_cndmask_b32_e64 v4, v4, v6, s[0:1]
	ds_bpermute_b32 v5, v5, v4
	v_cmp_eq_u32_e64 s[0:1], 0, v0
	s_and_saveexec_b64 s[4:5], s[0:1]
	s_cbranch_execz .LBB109_2
; %bb.1:
	v_lshrrev_b32_e32 v0, 1, v2
	v_add_u32_e32 v2, 4, v3
	s_waitcnt lgkmcnt(0)
	v_add_f32_e32 v3, v4, v5
	v_cmp_gt_u32_e64 s[0:1], s7, v2
	v_cndmask_b32_e64 v2, v4, v3, s[0:1]
	v_and_b32_e32 v0, 0x7ffffffc, v0
	v_cndmask_b32_e32 v1, v1, v2, vcc
	global_store_dword v0, v1, s[2:3]
.LBB109_2:
	s_endpgm
	.section	.rodata,"a",@progbits
	.p2align	6, 0x0
	.amdhsa_kernel _Z24warp_reduce_valid_kernelIfLj32ELj8EENSt9enable_ifIXsr10test_utilsE35device_test_enabled_for_warp_size_vIXT1_EEEvE4typeEPT_S4_i
		.amdhsa_group_segment_fixed_size 0
		.amdhsa_private_segment_fixed_size 0
		.amdhsa_kernarg_size 280
		.amdhsa_user_sgpr_count 6
		.amdhsa_user_sgpr_private_segment_buffer 1
		.amdhsa_user_sgpr_dispatch_ptr 0
		.amdhsa_user_sgpr_queue_ptr 0
		.amdhsa_user_sgpr_kernarg_segment_ptr 1
		.amdhsa_user_sgpr_dispatch_id 0
		.amdhsa_user_sgpr_flat_scratch_init 0
		.amdhsa_user_sgpr_kernarg_preload_length 0
		.amdhsa_user_sgpr_kernarg_preload_offset 0
		.amdhsa_user_sgpr_private_segment_size 0
		.amdhsa_uses_dynamic_stack 0
		.amdhsa_system_sgpr_private_segment_wavefront_offset 0
		.amdhsa_system_sgpr_workgroup_id_x 1
		.amdhsa_system_sgpr_workgroup_id_y 0
		.amdhsa_system_sgpr_workgroup_id_z 0
		.amdhsa_system_sgpr_workgroup_info 0
		.amdhsa_system_vgpr_workitem_id 0
		.amdhsa_next_free_vgpr 9
		.amdhsa_next_free_sgpr 9
		.amdhsa_accum_offset 12
		.amdhsa_reserve_vcc 1
		.amdhsa_reserve_flat_scratch 0
		.amdhsa_float_round_mode_32 0
		.amdhsa_float_round_mode_16_64 0
		.amdhsa_float_denorm_mode_32 3
		.amdhsa_float_denorm_mode_16_64 3
		.amdhsa_dx10_clamp 1
		.amdhsa_ieee_mode 1
		.amdhsa_fp16_overflow 0
		.amdhsa_tg_split 0
		.amdhsa_exception_fp_ieee_invalid_op 0
		.amdhsa_exception_fp_denorm_src 0
		.amdhsa_exception_fp_ieee_div_zero 0
		.amdhsa_exception_fp_ieee_overflow 0
		.amdhsa_exception_fp_ieee_underflow 0
		.amdhsa_exception_fp_ieee_inexact 0
		.amdhsa_exception_int_div_zero 0
	.end_amdhsa_kernel
	.section	.text._Z24warp_reduce_valid_kernelIfLj32ELj8EENSt9enable_ifIXsr10test_utilsE35device_test_enabled_for_warp_size_vIXT1_EEEvE4typeEPT_S4_i,"axG",@progbits,_Z24warp_reduce_valid_kernelIfLj32ELj8EENSt9enable_ifIXsr10test_utilsE35device_test_enabled_for_warp_size_vIXT1_EEEvE4typeEPT_S4_i,comdat
.Lfunc_end109:
	.size	_Z24warp_reduce_valid_kernelIfLj32ELj8EENSt9enable_ifIXsr10test_utilsE35device_test_enabled_for_warp_size_vIXT1_EEEvE4typeEPT_S4_i, .Lfunc_end109-_Z24warp_reduce_valid_kernelIfLj32ELj8EENSt9enable_ifIXsr10test_utilsE35device_test_enabled_for_warp_size_vIXT1_EEEvE4typeEPT_S4_i
                                        ; -- End function
	.section	.AMDGPU.csdata,"",@progbits
; Kernel info:
; codeLenInByte = 312
; NumSgprs: 13
; NumVgprs: 9
; NumAgprs: 0
; TotalNumVgprs: 9
; ScratchSize: 0
; MemoryBound: 0
; FloatMode: 240
; IeeeMode: 1
; LDSByteSize: 0 bytes/workgroup (compile time only)
; SGPRBlocks: 1
; VGPRBlocks: 1
; NumSGPRsForWavesPerEU: 13
; NumVGPRsForWavesPerEU: 9
; AccumOffset: 12
; Occupancy: 8
; WaveLimiterHint : 0
; COMPUTE_PGM_RSRC2:SCRATCH_EN: 0
; COMPUTE_PGM_RSRC2:USER_SGPR: 6
; COMPUTE_PGM_RSRC2:TRAP_HANDLER: 0
; COMPUTE_PGM_RSRC2:TGID_X_EN: 1
; COMPUTE_PGM_RSRC2:TGID_Y_EN: 0
; COMPUTE_PGM_RSRC2:TGID_Z_EN: 0
; COMPUTE_PGM_RSRC2:TIDIG_COMP_CNT: 0
; COMPUTE_PGM_RSRC3_GFX90A:ACCUM_OFFSET: 2
; COMPUTE_PGM_RSRC3_GFX90A:TG_SPLIT: 0
	.section	.text._Z24warp_reduce_valid_kernelIfLj64ELj8EENSt9enable_ifIXsr10test_utilsE35device_test_enabled_for_warp_size_vIXT1_EEEvE4typeEPT_S4_i,"axG",@progbits,_Z24warp_reduce_valid_kernelIfLj64ELj8EENSt9enable_ifIXsr10test_utilsE35device_test_enabled_for_warp_size_vIXT1_EEEvE4typeEPT_S4_i,comdat
	.protected	_Z24warp_reduce_valid_kernelIfLj64ELj8EENSt9enable_ifIXsr10test_utilsE35device_test_enabled_for_warp_size_vIXT1_EEEvE4typeEPT_S4_i ; -- Begin function _Z24warp_reduce_valid_kernelIfLj64ELj8EENSt9enable_ifIXsr10test_utilsE35device_test_enabled_for_warp_size_vIXT1_EEEvE4typeEPT_S4_i
	.globl	_Z24warp_reduce_valid_kernelIfLj64ELj8EENSt9enable_ifIXsr10test_utilsE35device_test_enabled_for_warp_size_vIXT1_EEEvE4typeEPT_S4_i
	.p2align	8
	.type	_Z24warp_reduce_valid_kernelIfLj64ELj8EENSt9enable_ifIXsr10test_utilsE35device_test_enabled_for_warp_size_vIXT1_EEEvE4typeEPT_S4_i,@function
_Z24warp_reduce_valid_kernelIfLj64ELj8EENSt9enable_ifIXsr10test_utilsE35device_test_enabled_for_warp_size_vIXT1_EEEvE4typeEPT_S4_i: ; @_Z24warp_reduce_valid_kernelIfLj64ELj8EENSt9enable_ifIXsr10test_utilsE35device_test_enabled_for_warp_size_vIXT1_EEEvE4typeEPT_S4_i
; %bb.0:
	s_load_dword s8, s[4:5], 0x24
	s_load_dwordx4 s[0:3], s[4:5], 0x0
	s_load_dword s7, s[4:5], 0x10
	v_mov_b32_e32 v3, 0
	s_waitcnt lgkmcnt(0)
	s_and_b32 s4, s8, 0xffff
	s_mul_i32 s6, s6, s4
	v_add_u32_e32 v2, s6, v0
	v_lshlrev_b64 v[4:5], 2, v[2:3]
	v_mov_b32_e32 v1, s1
	v_add_co_u32_e32 v4, vcc, s0, v4
	v_addc_co_u32_e32 v5, vcc, v1, v5, vcc
	global_load_dword v1, v[4:5], off
	v_mbcnt_lo_u32_b32 v3, -1, 0
	v_mbcnt_hi_u32_b32 v5, -1, v3
	v_and_b32_e32 v3, 7, v5
	v_cmp_ne_u32_e32 vcc, 7, v3
	v_addc_co_u32_e32 v6, vcc, 0, v5, vcc
	v_lshlrev_b32_e32 v6, 2, v6
	v_cmp_gt_u32_e32 vcc, 6, v3
	v_add_u32_e32 v4, 1, v3
	v_cndmask_b32_e64 v7, 0, 1, vcc
	v_lshlrev_b32_e32 v7, 1, v7
	v_cmp_gt_u32_e32 vcc, s7, v4
	v_add_lshl_u32 v7, v7, v5, 2
	v_cmp_gt_u32_e64 s[0:1], 4, v3
	v_cndmask_b32_e64 v8, 0, 1, s[0:1]
	v_lshlrev_b32_e32 v8, 2, v8
	v_add_lshl_u32 v5, v8, v5, 2
	v_and_b32_e32 v0, 7, v0
	s_waitcnt vmcnt(0)
	ds_bpermute_b32 v6, v6, v1
	s_waitcnt lgkmcnt(0)
	v_add_f32_e32 v6, v1, v6
	v_cndmask_b32_e32 v4, v1, v6, vcc
	ds_bpermute_b32 v6, v7, v4
	v_add_u32_e32 v7, 2, v3
	v_cmp_gt_u32_e64 s[0:1], s7, v7
	s_waitcnt lgkmcnt(0)
	v_add_f32_e32 v6, v4, v6
	v_cndmask_b32_e64 v4, v4, v6, s[0:1]
	ds_bpermute_b32 v5, v5, v4
	v_cmp_eq_u32_e64 s[0:1], 0, v0
	s_and_saveexec_b64 s[4:5], s[0:1]
	s_cbranch_execz .LBB110_2
; %bb.1:
	v_lshrrev_b32_e32 v0, 1, v2
	v_add_u32_e32 v2, 4, v3
	s_waitcnt lgkmcnt(0)
	v_add_f32_e32 v3, v4, v5
	v_cmp_gt_u32_e64 s[0:1], s7, v2
	v_cndmask_b32_e64 v2, v4, v3, s[0:1]
	v_and_b32_e32 v0, 0x7ffffffc, v0
	v_cndmask_b32_e32 v1, v1, v2, vcc
	global_store_dword v0, v1, s[2:3]
.LBB110_2:
	s_endpgm
	.section	.rodata,"a",@progbits
	.p2align	6, 0x0
	.amdhsa_kernel _Z24warp_reduce_valid_kernelIfLj64ELj8EENSt9enable_ifIXsr10test_utilsE35device_test_enabled_for_warp_size_vIXT1_EEEvE4typeEPT_S4_i
		.amdhsa_group_segment_fixed_size 0
		.amdhsa_private_segment_fixed_size 0
		.amdhsa_kernarg_size 280
		.amdhsa_user_sgpr_count 6
		.amdhsa_user_sgpr_private_segment_buffer 1
		.amdhsa_user_sgpr_dispatch_ptr 0
		.amdhsa_user_sgpr_queue_ptr 0
		.amdhsa_user_sgpr_kernarg_segment_ptr 1
		.amdhsa_user_sgpr_dispatch_id 0
		.amdhsa_user_sgpr_flat_scratch_init 0
		.amdhsa_user_sgpr_kernarg_preload_length 0
		.amdhsa_user_sgpr_kernarg_preload_offset 0
		.amdhsa_user_sgpr_private_segment_size 0
		.amdhsa_uses_dynamic_stack 0
		.amdhsa_system_sgpr_private_segment_wavefront_offset 0
		.amdhsa_system_sgpr_workgroup_id_x 1
		.amdhsa_system_sgpr_workgroup_id_y 0
		.amdhsa_system_sgpr_workgroup_id_z 0
		.amdhsa_system_sgpr_workgroup_info 0
		.amdhsa_system_vgpr_workitem_id 0
		.amdhsa_next_free_vgpr 9
		.amdhsa_next_free_sgpr 9
		.amdhsa_accum_offset 12
		.amdhsa_reserve_vcc 1
		.amdhsa_reserve_flat_scratch 0
		.amdhsa_float_round_mode_32 0
		.amdhsa_float_round_mode_16_64 0
		.amdhsa_float_denorm_mode_32 3
		.amdhsa_float_denorm_mode_16_64 3
		.amdhsa_dx10_clamp 1
		.amdhsa_ieee_mode 1
		.amdhsa_fp16_overflow 0
		.amdhsa_tg_split 0
		.amdhsa_exception_fp_ieee_invalid_op 0
		.amdhsa_exception_fp_denorm_src 0
		.amdhsa_exception_fp_ieee_div_zero 0
		.amdhsa_exception_fp_ieee_overflow 0
		.amdhsa_exception_fp_ieee_underflow 0
		.amdhsa_exception_fp_ieee_inexact 0
		.amdhsa_exception_int_div_zero 0
	.end_amdhsa_kernel
	.section	.text._Z24warp_reduce_valid_kernelIfLj64ELj8EENSt9enable_ifIXsr10test_utilsE35device_test_enabled_for_warp_size_vIXT1_EEEvE4typeEPT_S4_i,"axG",@progbits,_Z24warp_reduce_valid_kernelIfLj64ELj8EENSt9enable_ifIXsr10test_utilsE35device_test_enabled_for_warp_size_vIXT1_EEEvE4typeEPT_S4_i,comdat
.Lfunc_end110:
	.size	_Z24warp_reduce_valid_kernelIfLj64ELj8EENSt9enable_ifIXsr10test_utilsE35device_test_enabled_for_warp_size_vIXT1_EEEvE4typeEPT_S4_i, .Lfunc_end110-_Z24warp_reduce_valid_kernelIfLj64ELj8EENSt9enable_ifIXsr10test_utilsE35device_test_enabled_for_warp_size_vIXT1_EEEvE4typeEPT_S4_i
                                        ; -- End function
	.section	.AMDGPU.csdata,"",@progbits
; Kernel info:
; codeLenInByte = 312
; NumSgprs: 13
; NumVgprs: 9
; NumAgprs: 0
; TotalNumVgprs: 9
; ScratchSize: 0
; MemoryBound: 0
; FloatMode: 240
; IeeeMode: 1
; LDSByteSize: 0 bytes/workgroup (compile time only)
; SGPRBlocks: 1
; VGPRBlocks: 1
; NumSGPRsForWavesPerEU: 13
; NumVGPRsForWavesPerEU: 9
; AccumOffset: 12
; Occupancy: 8
; WaveLimiterHint : 0
; COMPUTE_PGM_RSRC2:SCRATCH_EN: 0
; COMPUTE_PGM_RSRC2:USER_SGPR: 6
; COMPUTE_PGM_RSRC2:TRAP_HANDLER: 0
; COMPUTE_PGM_RSRC2:TGID_X_EN: 1
; COMPUTE_PGM_RSRC2:TGID_Y_EN: 0
; COMPUTE_PGM_RSRC2:TGID_Z_EN: 0
; COMPUTE_PGM_RSRC2:TIDIG_COMP_CNT: 0
; COMPUTE_PGM_RSRC3_GFX90A:ACCUM_OFFSET: 2
; COMPUTE_PGM_RSRC3_GFX90A:TG_SPLIT: 0
	.section	.text._Z24warp_reduce_valid_kernelIfLj32ELj4EENSt9enable_ifIXsr10test_utilsE35device_test_enabled_for_warp_size_vIXT1_EEEvE4typeEPT_S4_i,"axG",@progbits,_Z24warp_reduce_valid_kernelIfLj32ELj4EENSt9enable_ifIXsr10test_utilsE35device_test_enabled_for_warp_size_vIXT1_EEEvE4typeEPT_S4_i,comdat
	.protected	_Z24warp_reduce_valid_kernelIfLj32ELj4EENSt9enable_ifIXsr10test_utilsE35device_test_enabled_for_warp_size_vIXT1_EEEvE4typeEPT_S4_i ; -- Begin function _Z24warp_reduce_valid_kernelIfLj32ELj4EENSt9enable_ifIXsr10test_utilsE35device_test_enabled_for_warp_size_vIXT1_EEEvE4typeEPT_S4_i
	.globl	_Z24warp_reduce_valid_kernelIfLj32ELj4EENSt9enable_ifIXsr10test_utilsE35device_test_enabled_for_warp_size_vIXT1_EEEvE4typeEPT_S4_i
	.p2align	8
	.type	_Z24warp_reduce_valid_kernelIfLj32ELj4EENSt9enable_ifIXsr10test_utilsE35device_test_enabled_for_warp_size_vIXT1_EEEvE4typeEPT_S4_i,@function
_Z24warp_reduce_valid_kernelIfLj32ELj4EENSt9enable_ifIXsr10test_utilsE35device_test_enabled_for_warp_size_vIXT1_EEEvE4typeEPT_S4_i: ; @_Z24warp_reduce_valid_kernelIfLj32ELj4EENSt9enable_ifIXsr10test_utilsE35device_test_enabled_for_warp_size_vIXT1_EEEvE4typeEPT_S4_i
; %bb.0:
	s_load_dword s8, s[4:5], 0x24
	s_load_dwordx4 s[0:3], s[4:5], 0x0
	s_load_dword s7, s[4:5], 0x10
	v_mov_b32_e32 v3, 0
	s_waitcnt lgkmcnt(0)
	s_and_b32 s4, s8, 0xffff
	s_mul_i32 s6, s6, s4
	v_add_u32_e32 v2, s6, v0
	v_lshlrev_b64 v[4:5], 2, v[2:3]
	v_mov_b32_e32 v1, s1
	v_add_co_u32_e32 v4, vcc, s0, v4
	v_addc_co_u32_e32 v5, vcc, v1, v5, vcc
	global_load_dword v1, v[4:5], off
	v_mbcnt_lo_u32_b32 v3, -1, 0
	v_mbcnt_hi_u32_b32 v5, -1, v3
	v_and_b32_e32 v3, 3, v5
	v_cmp_ne_u32_e32 vcc, 3, v3
	v_addc_co_u32_e32 v4, vcc, 0, v5, vcc
	v_lshlrev_b32_e32 v4, 2, v4
	v_cmp_gt_u32_e32 vcc, 2, v3
	v_add_u32_e32 v6, 1, v3
	v_cndmask_b32_e64 v7, 0, 1, vcc
	v_lshlrev_b32_e32 v7, 1, v7
	v_cmp_gt_u32_e32 vcc, s7, v6
	v_add_lshl_u32 v5, v7, v5, 2
	v_and_b32_e32 v0, 3, v0
	v_cmp_eq_u32_e64 s[0:1], 0, v0
	s_waitcnt vmcnt(0)
	ds_bpermute_b32 v4, v4, v1
	s_waitcnt lgkmcnt(0)
	v_add_f32_e32 v4, v1, v4
	v_cndmask_b32_e32 v4, v1, v4, vcc
	ds_bpermute_b32 v5, v5, v4
	s_and_saveexec_b64 s[4:5], s[0:1]
	s_cbranch_execz .LBB111_2
; %bb.1:
	v_and_b32_e32 v0, -4, v2
	v_add_u32_e32 v2, 2, v3
	s_waitcnt lgkmcnt(0)
	v_add_f32_e32 v3, v4, v5
	v_cmp_gt_u32_e64 s[0:1], s7, v2
	v_cndmask_b32_e64 v2, v4, v3, s[0:1]
	v_cndmask_b32_e32 v1, v1, v2, vcc
	global_store_dword v0, v1, s[2:3]
.LBB111_2:
	s_endpgm
	.section	.rodata,"a",@progbits
	.p2align	6, 0x0
	.amdhsa_kernel _Z24warp_reduce_valid_kernelIfLj32ELj4EENSt9enable_ifIXsr10test_utilsE35device_test_enabled_for_warp_size_vIXT1_EEEvE4typeEPT_S4_i
		.amdhsa_group_segment_fixed_size 0
		.amdhsa_private_segment_fixed_size 0
		.amdhsa_kernarg_size 280
		.amdhsa_user_sgpr_count 6
		.amdhsa_user_sgpr_private_segment_buffer 1
		.amdhsa_user_sgpr_dispatch_ptr 0
		.amdhsa_user_sgpr_queue_ptr 0
		.amdhsa_user_sgpr_kernarg_segment_ptr 1
		.amdhsa_user_sgpr_dispatch_id 0
		.amdhsa_user_sgpr_flat_scratch_init 0
		.amdhsa_user_sgpr_kernarg_preload_length 0
		.amdhsa_user_sgpr_kernarg_preload_offset 0
		.amdhsa_user_sgpr_private_segment_size 0
		.amdhsa_uses_dynamic_stack 0
		.amdhsa_system_sgpr_private_segment_wavefront_offset 0
		.amdhsa_system_sgpr_workgroup_id_x 1
		.amdhsa_system_sgpr_workgroup_id_y 0
		.amdhsa_system_sgpr_workgroup_id_z 0
		.amdhsa_system_sgpr_workgroup_info 0
		.amdhsa_system_vgpr_workitem_id 0
		.amdhsa_next_free_vgpr 8
		.amdhsa_next_free_sgpr 9
		.amdhsa_accum_offset 8
		.amdhsa_reserve_vcc 1
		.amdhsa_reserve_flat_scratch 0
		.amdhsa_float_round_mode_32 0
		.amdhsa_float_round_mode_16_64 0
		.amdhsa_float_denorm_mode_32 3
		.amdhsa_float_denorm_mode_16_64 3
		.amdhsa_dx10_clamp 1
		.amdhsa_ieee_mode 1
		.amdhsa_fp16_overflow 0
		.amdhsa_tg_split 0
		.amdhsa_exception_fp_ieee_invalid_op 0
		.amdhsa_exception_fp_denorm_src 0
		.amdhsa_exception_fp_ieee_div_zero 0
		.amdhsa_exception_fp_ieee_overflow 0
		.amdhsa_exception_fp_ieee_underflow 0
		.amdhsa_exception_fp_ieee_inexact 0
		.amdhsa_exception_int_div_zero 0
	.end_amdhsa_kernel
	.section	.text._Z24warp_reduce_valid_kernelIfLj32ELj4EENSt9enable_ifIXsr10test_utilsE35device_test_enabled_for_warp_size_vIXT1_EEEvE4typeEPT_S4_i,"axG",@progbits,_Z24warp_reduce_valid_kernelIfLj32ELj4EENSt9enable_ifIXsr10test_utilsE35device_test_enabled_for_warp_size_vIXT1_EEEvE4typeEPT_S4_i,comdat
.Lfunc_end111:
	.size	_Z24warp_reduce_valid_kernelIfLj32ELj4EENSt9enable_ifIXsr10test_utilsE35device_test_enabled_for_warp_size_vIXT1_EEEvE4typeEPT_S4_i, .Lfunc_end111-_Z24warp_reduce_valid_kernelIfLj32ELj4EENSt9enable_ifIXsr10test_utilsE35device_test_enabled_for_warp_size_vIXT1_EEEvE4typeEPT_S4_i
                                        ; -- End function
	.section	.AMDGPU.csdata,"",@progbits
; Kernel info:
; codeLenInByte = 240
; NumSgprs: 13
; NumVgprs: 8
; NumAgprs: 0
; TotalNumVgprs: 8
; ScratchSize: 0
; MemoryBound: 0
; FloatMode: 240
; IeeeMode: 1
; LDSByteSize: 0 bytes/workgroup (compile time only)
; SGPRBlocks: 1
; VGPRBlocks: 0
; NumSGPRsForWavesPerEU: 13
; NumVGPRsForWavesPerEU: 8
; AccumOffset: 8
; Occupancy: 8
; WaveLimiterHint : 0
; COMPUTE_PGM_RSRC2:SCRATCH_EN: 0
; COMPUTE_PGM_RSRC2:USER_SGPR: 6
; COMPUTE_PGM_RSRC2:TRAP_HANDLER: 0
; COMPUTE_PGM_RSRC2:TGID_X_EN: 1
; COMPUTE_PGM_RSRC2:TGID_Y_EN: 0
; COMPUTE_PGM_RSRC2:TGID_Z_EN: 0
; COMPUTE_PGM_RSRC2:TIDIG_COMP_CNT: 0
; COMPUTE_PGM_RSRC3_GFX90A:ACCUM_OFFSET: 1
; COMPUTE_PGM_RSRC3_GFX90A:TG_SPLIT: 0
	.section	.text._Z24warp_reduce_valid_kernelIfLj64ELj4EENSt9enable_ifIXsr10test_utilsE35device_test_enabled_for_warp_size_vIXT1_EEEvE4typeEPT_S4_i,"axG",@progbits,_Z24warp_reduce_valid_kernelIfLj64ELj4EENSt9enable_ifIXsr10test_utilsE35device_test_enabled_for_warp_size_vIXT1_EEEvE4typeEPT_S4_i,comdat
	.protected	_Z24warp_reduce_valid_kernelIfLj64ELj4EENSt9enable_ifIXsr10test_utilsE35device_test_enabled_for_warp_size_vIXT1_EEEvE4typeEPT_S4_i ; -- Begin function _Z24warp_reduce_valid_kernelIfLj64ELj4EENSt9enable_ifIXsr10test_utilsE35device_test_enabled_for_warp_size_vIXT1_EEEvE4typeEPT_S4_i
	.globl	_Z24warp_reduce_valid_kernelIfLj64ELj4EENSt9enable_ifIXsr10test_utilsE35device_test_enabled_for_warp_size_vIXT1_EEEvE4typeEPT_S4_i
	.p2align	8
	.type	_Z24warp_reduce_valid_kernelIfLj64ELj4EENSt9enable_ifIXsr10test_utilsE35device_test_enabled_for_warp_size_vIXT1_EEEvE4typeEPT_S4_i,@function
_Z24warp_reduce_valid_kernelIfLj64ELj4EENSt9enable_ifIXsr10test_utilsE35device_test_enabled_for_warp_size_vIXT1_EEEvE4typeEPT_S4_i: ; @_Z24warp_reduce_valid_kernelIfLj64ELj4EENSt9enable_ifIXsr10test_utilsE35device_test_enabled_for_warp_size_vIXT1_EEEvE4typeEPT_S4_i
; %bb.0:
	s_load_dword s8, s[4:5], 0x24
	s_load_dwordx4 s[0:3], s[4:5], 0x0
	s_load_dword s7, s[4:5], 0x10
	v_mov_b32_e32 v3, 0
	s_waitcnt lgkmcnt(0)
	s_and_b32 s4, s8, 0xffff
	s_mul_i32 s6, s6, s4
	v_add_u32_e32 v2, s6, v0
	v_lshlrev_b64 v[4:5], 2, v[2:3]
	v_mov_b32_e32 v1, s1
	v_add_co_u32_e32 v4, vcc, s0, v4
	v_addc_co_u32_e32 v5, vcc, v1, v5, vcc
	global_load_dword v1, v[4:5], off
	v_mbcnt_lo_u32_b32 v3, -1, 0
	v_mbcnt_hi_u32_b32 v5, -1, v3
	v_and_b32_e32 v3, 3, v5
	v_cmp_ne_u32_e32 vcc, 3, v3
	v_addc_co_u32_e32 v4, vcc, 0, v5, vcc
	v_lshlrev_b32_e32 v4, 2, v4
	v_cmp_gt_u32_e32 vcc, 2, v3
	v_add_u32_e32 v6, 1, v3
	v_cndmask_b32_e64 v7, 0, 1, vcc
	v_lshlrev_b32_e32 v7, 1, v7
	v_cmp_gt_u32_e32 vcc, s7, v6
	v_add_lshl_u32 v5, v7, v5, 2
	v_and_b32_e32 v0, 3, v0
	v_cmp_eq_u32_e64 s[0:1], 0, v0
	s_waitcnt vmcnt(0)
	ds_bpermute_b32 v4, v4, v1
	s_waitcnt lgkmcnt(0)
	v_add_f32_e32 v4, v1, v4
	v_cndmask_b32_e32 v4, v1, v4, vcc
	ds_bpermute_b32 v5, v5, v4
	s_and_saveexec_b64 s[4:5], s[0:1]
	s_cbranch_execz .LBB112_2
; %bb.1:
	v_and_b32_e32 v0, -4, v2
	v_add_u32_e32 v2, 2, v3
	s_waitcnt lgkmcnt(0)
	v_add_f32_e32 v3, v4, v5
	v_cmp_gt_u32_e64 s[0:1], s7, v2
	v_cndmask_b32_e64 v2, v4, v3, s[0:1]
	v_cndmask_b32_e32 v1, v1, v2, vcc
	global_store_dword v0, v1, s[2:3]
.LBB112_2:
	s_endpgm
	.section	.rodata,"a",@progbits
	.p2align	6, 0x0
	.amdhsa_kernel _Z24warp_reduce_valid_kernelIfLj64ELj4EENSt9enable_ifIXsr10test_utilsE35device_test_enabled_for_warp_size_vIXT1_EEEvE4typeEPT_S4_i
		.amdhsa_group_segment_fixed_size 0
		.amdhsa_private_segment_fixed_size 0
		.amdhsa_kernarg_size 280
		.amdhsa_user_sgpr_count 6
		.amdhsa_user_sgpr_private_segment_buffer 1
		.amdhsa_user_sgpr_dispatch_ptr 0
		.amdhsa_user_sgpr_queue_ptr 0
		.amdhsa_user_sgpr_kernarg_segment_ptr 1
		.amdhsa_user_sgpr_dispatch_id 0
		.amdhsa_user_sgpr_flat_scratch_init 0
		.amdhsa_user_sgpr_kernarg_preload_length 0
		.amdhsa_user_sgpr_kernarg_preload_offset 0
		.amdhsa_user_sgpr_private_segment_size 0
		.amdhsa_uses_dynamic_stack 0
		.amdhsa_system_sgpr_private_segment_wavefront_offset 0
		.amdhsa_system_sgpr_workgroup_id_x 1
		.amdhsa_system_sgpr_workgroup_id_y 0
		.amdhsa_system_sgpr_workgroup_id_z 0
		.amdhsa_system_sgpr_workgroup_info 0
		.amdhsa_system_vgpr_workitem_id 0
		.amdhsa_next_free_vgpr 8
		.amdhsa_next_free_sgpr 9
		.amdhsa_accum_offset 8
		.amdhsa_reserve_vcc 1
		.amdhsa_reserve_flat_scratch 0
		.amdhsa_float_round_mode_32 0
		.amdhsa_float_round_mode_16_64 0
		.amdhsa_float_denorm_mode_32 3
		.amdhsa_float_denorm_mode_16_64 3
		.amdhsa_dx10_clamp 1
		.amdhsa_ieee_mode 1
		.amdhsa_fp16_overflow 0
		.amdhsa_tg_split 0
		.amdhsa_exception_fp_ieee_invalid_op 0
		.amdhsa_exception_fp_denorm_src 0
		.amdhsa_exception_fp_ieee_div_zero 0
		.amdhsa_exception_fp_ieee_overflow 0
		.amdhsa_exception_fp_ieee_underflow 0
		.amdhsa_exception_fp_ieee_inexact 0
		.amdhsa_exception_int_div_zero 0
	.end_amdhsa_kernel
	.section	.text._Z24warp_reduce_valid_kernelIfLj64ELj4EENSt9enable_ifIXsr10test_utilsE35device_test_enabled_for_warp_size_vIXT1_EEEvE4typeEPT_S4_i,"axG",@progbits,_Z24warp_reduce_valid_kernelIfLj64ELj4EENSt9enable_ifIXsr10test_utilsE35device_test_enabled_for_warp_size_vIXT1_EEEvE4typeEPT_S4_i,comdat
.Lfunc_end112:
	.size	_Z24warp_reduce_valid_kernelIfLj64ELj4EENSt9enable_ifIXsr10test_utilsE35device_test_enabled_for_warp_size_vIXT1_EEEvE4typeEPT_S4_i, .Lfunc_end112-_Z24warp_reduce_valid_kernelIfLj64ELj4EENSt9enable_ifIXsr10test_utilsE35device_test_enabled_for_warp_size_vIXT1_EEEvE4typeEPT_S4_i
                                        ; -- End function
	.section	.AMDGPU.csdata,"",@progbits
; Kernel info:
; codeLenInByte = 240
; NumSgprs: 13
; NumVgprs: 8
; NumAgprs: 0
; TotalNumVgprs: 8
; ScratchSize: 0
; MemoryBound: 0
; FloatMode: 240
; IeeeMode: 1
; LDSByteSize: 0 bytes/workgroup (compile time only)
; SGPRBlocks: 1
; VGPRBlocks: 0
; NumSGPRsForWavesPerEU: 13
; NumVGPRsForWavesPerEU: 8
; AccumOffset: 8
; Occupancy: 8
; WaveLimiterHint : 0
; COMPUTE_PGM_RSRC2:SCRATCH_EN: 0
; COMPUTE_PGM_RSRC2:USER_SGPR: 6
; COMPUTE_PGM_RSRC2:TRAP_HANDLER: 0
; COMPUTE_PGM_RSRC2:TGID_X_EN: 1
; COMPUTE_PGM_RSRC2:TGID_Y_EN: 0
; COMPUTE_PGM_RSRC2:TGID_Z_EN: 0
; COMPUTE_PGM_RSRC2:TIDIG_COMP_CNT: 0
; COMPUTE_PGM_RSRC3_GFX90A:ACCUM_OFFSET: 1
; COMPUTE_PGM_RSRC3_GFX90A:TG_SPLIT: 0
	.section	.text._Z24warp_reduce_valid_kernelIfLj32ELj2EENSt9enable_ifIXsr10test_utilsE35device_test_enabled_for_warp_size_vIXT1_EEEvE4typeEPT_S4_i,"axG",@progbits,_Z24warp_reduce_valid_kernelIfLj32ELj2EENSt9enable_ifIXsr10test_utilsE35device_test_enabled_for_warp_size_vIXT1_EEEvE4typeEPT_S4_i,comdat
	.protected	_Z24warp_reduce_valid_kernelIfLj32ELj2EENSt9enable_ifIXsr10test_utilsE35device_test_enabled_for_warp_size_vIXT1_EEEvE4typeEPT_S4_i ; -- Begin function _Z24warp_reduce_valid_kernelIfLj32ELj2EENSt9enable_ifIXsr10test_utilsE35device_test_enabled_for_warp_size_vIXT1_EEEvE4typeEPT_S4_i
	.globl	_Z24warp_reduce_valid_kernelIfLj32ELj2EENSt9enable_ifIXsr10test_utilsE35device_test_enabled_for_warp_size_vIXT1_EEEvE4typeEPT_S4_i
	.p2align	8
	.type	_Z24warp_reduce_valid_kernelIfLj32ELj2EENSt9enable_ifIXsr10test_utilsE35device_test_enabled_for_warp_size_vIXT1_EEEvE4typeEPT_S4_i,@function
_Z24warp_reduce_valid_kernelIfLj32ELj2EENSt9enable_ifIXsr10test_utilsE35device_test_enabled_for_warp_size_vIXT1_EEEvE4typeEPT_S4_i: ; @_Z24warp_reduce_valid_kernelIfLj32ELj2EENSt9enable_ifIXsr10test_utilsE35device_test_enabled_for_warp_size_vIXT1_EEEvE4typeEPT_S4_i
; %bb.0:
	s_load_dword s7, s[4:5], 0x24
	s_load_dwordx4 s[0:3], s[4:5], 0x0
	v_mov_b32_e32 v3, 0
	s_waitcnt lgkmcnt(0)
	s_and_b32 s7, s7, 0xffff
	s_mul_i32 s6, s6, s7
	v_add_u32_e32 v2, s6, v0
	v_lshlrev_b64 v[4:5], 2, v[2:3]
	v_mov_b32_e32 v1, s1
	v_add_co_u32_e32 v4, vcc, s0, v4
	v_addc_co_u32_e32 v5, vcc, v1, v5, vcc
	global_load_dword v1, v[4:5], off
	v_mbcnt_lo_u32_b32 v4, -1, 0
	v_mbcnt_hi_u32_b32 v5, -1, v4
	v_lshl_or_b32 v4, v5, 2, 4
	v_and_b32_e32 v0, 1, v0
	v_cmp_eq_u32_e32 vcc, 0, v0
	s_waitcnt vmcnt(0)
	ds_bpermute_b32 v4, v4, v1
	s_and_saveexec_b64 s[0:1], vcc
	s_cbranch_execz .LBB113_2
; %bb.1:
	s_load_dword s0, s[4:5], 0x10
	v_lshrrev_b32_e32 v2, 1, v2
	v_lshlrev_b64 v[2:3], 2, v[2:3]
	v_mov_b32_e32 v0, s3
	v_add_co_u32_e32 v2, vcc, s2, v2
	v_addc_co_u32_e32 v3, vcc, v0, v3, vcc
	v_and_b32_e32 v0, 1, v5
	v_add_u32_e32 v0, 1, v0
	s_waitcnt lgkmcnt(0)
	v_add_f32_e32 v4, v1, v4
	v_cmp_gt_u32_e32 vcc, s0, v0
	v_cndmask_b32_e32 v0, v1, v4, vcc
	global_store_dword v[2:3], v0, off
.LBB113_2:
	s_endpgm
	.section	.rodata,"a",@progbits
	.p2align	6, 0x0
	.amdhsa_kernel _Z24warp_reduce_valid_kernelIfLj32ELj2EENSt9enable_ifIXsr10test_utilsE35device_test_enabled_for_warp_size_vIXT1_EEEvE4typeEPT_S4_i
		.amdhsa_group_segment_fixed_size 0
		.amdhsa_private_segment_fixed_size 0
		.amdhsa_kernarg_size 280
		.amdhsa_user_sgpr_count 6
		.amdhsa_user_sgpr_private_segment_buffer 1
		.amdhsa_user_sgpr_dispatch_ptr 0
		.amdhsa_user_sgpr_queue_ptr 0
		.amdhsa_user_sgpr_kernarg_segment_ptr 1
		.amdhsa_user_sgpr_dispatch_id 0
		.amdhsa_user_sgpr_flat_scratch_init 0
		.amdhsa_user_sgpr_kernarg_preload_length 0
		.amdhsa_user_sgpr_kernarg_preload_offset 0
		.amdhsa_user_sgpr_private_segment_size 0
		.amdhsa_uses_dynamic_stack 0
		.amdhsa_system_sgpr_private_segment_wavefront_offset 0
		.amdhsa_system_sgpr_workgroup_id_x 1
		.amdhsa_system_sgpr_workgroup_id_y 0
		.amdhsa_system_sgpr_workgroup_id_z 0
		.amdhsa_system_sgpr_workgroup_info 0
		.amdhsa_system_vgpr_workitem_id 0
		.amdhsa_next_free_vgpr 6
		.amdhsa_next_free_sgpr 8
		.amdhsa_accum_offset 8
		.amdhsa_reserve_vcc 1
		.amdhsa_reserve_flat_scratch 0
		.amdhsa_float_round_mode_32 0
		.amdhsa_float_round_mode_16_64 0
		.amdhsa_float_denorm_mode_32 3
		.amdhsa_float_denorm_mode_16_64 3
		.amdhsa_dx10_clamp 1
		.amdhsa_ieee_mode 1
		.amdhsa_fp16_overflow 0
		.amdhsa_tg_split 0
		.amdhsa_exception_fp_ieee_invalid_op 0
		.amdhsa_exception_fp_denorm_src 0
		.amdhsa_exception_fp_ieee_div_zero 0
		.amdhsa_exception_fp_ieee_overflow 0
		.amdhsa_exception_fp_ieee_underflow 0
		.amdhsa_exception_fp_ieee_inexact 0
		.amdhsa_exception_int_div_zero 0
	.end_amdhsa_kernel
	.section	.text._Z24warp_reduce_valid_kernelIfLj32ELj2EENSt9enable_ifIXsr10test_utilsE35device_test_enabled_for_warp_size_vIXT1_EEEvE4typeEPT_S4_i,"axG",@progbits,_Z24warp_reduce_valid_kernelIfLj32ELj2EENSt9enable_ifIXsr10test_utilsE35device_test_enabled_for_warp_size_vIXT1_EEEvE4typeEPT_S4_i,comdat
.Lfunc_end113:
	.size	_Z24warp_reduce_valid_kernelIfLj32ELj2EENSt9enable_ifIXsr10test_utilsE35device_test_enabled_for_warp_size_vIXT1_EEEvE4typeEPT_S4_i, .Lfunc_end113-_Z24warp_reduce_valid_kernelIfLj32ELj2EENSt9enable_ifIXsr10test_utilsE35device_test_enabled_for_warp_size_vIXT1_EEEvE4typeEPT_S4_i
                                        ; -- End function
	.section	.AMDGPU.csdata,"",@progbits
; Kernel info:
; codeLenInByte = 188
; NumSgprs: 12
; NumVgprs: 6
; NumAgprs: 0
; TotalNumVgprs: 6
; ScratchSize: 0
; MemoryBound: 0
; FloatMode: 240
; IeeeMode: 1
; LDSByteSize: 0 bytes/workgroup (compile time only)
; SGPRBlocks: 1
; VGPRBlocks: 0
; NumSGPRsForWavesPerEU: 12
; NumVGPRsForWavesPerEU: 6
; AccumOffset: 8
; Occupancy: 8
; WaveLimiterHint : 0
; COMPUTE_PGM_RSRC2:SCRATCH_EN: 0
; COMPUTE_PGM_RSRC2:USER_SGPR: 6
; COMPUTE_PGM_RSRC2:TRAP_HANDLER: 0
; COMPUTE_PGM_RSRC2:TGID_X_EN: 1
; COMPUTE_PGM_RSRC2:TGID_Y_EN: 0
; COMPUTE_PGM_RSRC2:TGID_Z_EN: 0
; COMPUTE_PGM_RSRC2:TIDIG_COMP_CNT: 0
; COMPUTE_PGM_RSRC3_GFX90A:ACCUM_OFFSET: 1
; COMPUTE_PGM_RSRC3_GFX90A:TG_SPLIT: 0
	.section	.text._Z24warp_reduce_valid_kernelIfLj64ELj2EENSt9enable_ifIXsr10test_utilsE35device_test_enabled_for_warp_size_vIXT1_EEEvE4typeEPT_S4_i,"axG",@progbits,_Z24warp_reduce_valid_kernelIfLj64ELj2EENSt9enable_ifIXsr10test_utilsE35device_test_enabled_for_warp_size_vIXT1_EEEvE4typeEPT_S4_i,comdat
	.protected	_Z24warp_reduce_valid_kernelIfLj64ELj2EENSt9enable_ifIXsr10test_utilsE35device_test_enabled_for_warp_size_vIXT1_EEEvE4typeEPT_S4_i ; -- Begin function _Z24warp_reduce_valid_kernelIfLj64ELj2EENSt9enable_ifIXsr10test_utilsE35device_test_enabled_for_warp_size_vIXT1_EEEvE4typeEPT_S4_i
	.globl	_Z24warp_reduce_valid_kernelIfLj64ELj2EENSt9enable_ifIXsr10test_utilsE35device_test_enabled_for_warp_size_vIXT1_EEEvE4typeEPT_S4_i
	.p2align	8
	.type	_Z24warp_reduce_valid_kernelIfLj64ELj2EENSt9enable_ifIXsr10test_utilsE35device_test_enabled_for_warp_size_vIXT1_EEEvE4typeEPT_S4_i,@function
_Z24warp_reduce_valid_kernelIfLj64ELj2EENSt9enable_ifIXsr10test_utilsE35device_test_enabled_for_warp_size_vIXT1_EEEvE4typeEPT_S4_i: ; @_Z24warp_reduce_valid_kernelIfLj64ELj2EENSt9enable_ifIXsr10test_utilsE35device_test_enabled_for_warp_size_vIXT1_EEEvE4typeEPT_S4_i
; %bb.0:
	s_load_dword s7, s[4:5], 0x24
	s_load_dwordx4 s[0:3], s[4:5], 0x0
	v_mov_b32_e32 v3, 0
	s_waitcnt lgkmcnt(0)
	s_and_b32 s7, s7, 0xffff
	s_mul_i32 s6, s6, s7
	v_add_u32_e32 v2, s6, v0
	v_lshlrev_b64 v[4:5], 2, v[2:3]
	v_mov_b32_e32 v1, s1
	v_add_co_u32_e32 v4, vcc, s0, v4
	v_addc_co_u32_e32 v5, vcc, v1, v5, vcc
	global_load_dword v1, v[4:5], off
	v_mbcnt_lo_u32_b32 v4, -1, 0
	v_mbcnt_hi_u32_b32 v5, -1, v4
	v_lshl_or_b32 v4, v5, 2, 4
	v_and_b32_e32 v0, 1, v0
	v_cmp_eq_u32_e32 vcc, 0, v0
	s_waitcnt vmcnt(0)
	ds_bpermute_b32 v4, v4, v1
	s_and_saveexec_b64 s[0:1], vcc
	s_cbranch_execz .LBB114_2
; %bb.1:
	s_load_dword s0, s[4:5], 0x10
	v_lshrrev_b32_e32 v2, 1, v2
	v_lshlrev_b64 v[2:3], 2, v[2:3]
	v_mov_b32_e32 v0, s3
	v_add_co_u32_e32 v2, vcc, s2, v2
	v_addc_co_u32_e32 v3, vcc, v0, v3, vcc
	v_and_b32_e32 v0, 1, v5
	v_add_u32_e32 v0, 1, v0
	s_waitcnt lgkmcnt(0)
	v_add_f32_e32 v4, v1, v4
	v_cmp_gt_u32_e32 vcc, s0, v0
	v_cndmask_b32_e32 v0, v1, v4, vcc
	global_store_dword v[2:3], v0, off
.LBB114_2:
	s_endpgm
	.section	.rodata,"a",@progbits
	.p2align	6, 0x0
	.amdhsa_kernel _Z24warp_reduce_valid_kernelIfLj64ELj2EENSt9enable_ifIXsr10test_utilsE35device_test_enabled_for_warp_size_vIXT1_EEEvE4typeEPT_S4_i
		.amdhsa_group_segment_fixed_size 0
		.amdhsa_private_segment_fixed_size 0
		.amdhsa_kernarg_size 280
		.amdhsa_user_sgpr_count 6
		.amdhsa_user_sgpr_private_segment_buffer 1
		.amdhsa_user_sgpr_dispatch_ptr 0
		.amdhsa_user_sgpr_queue_ptr 0
		.amdhsa_user_sgpr_kernarg_segment_ptr 1
		.amdhsa_user_sgpr_dispatch_id 0
		.amdhsa_user_sgpr_flat_scratch_init 0
		.amdhsa_user_sgpr_kernarg_preload_length 0
		.amdhsa_user_sgpr_kernarg_preload_offset 0
		.amdhsa_user_sgpr_private_segment_size 0
		.amdhsa_uses_dynamic_stack 0
		.amdhsa_system_sgpr_private_segment_wavefront_offset 0
		.amdhsa_system_sgpr_workgroup_id_x 1
		.amdhsa_system_sgpr_workgroup_id_y 0
		.amdhsa_system_sgpr_workgroup_id_z 0
		.amdhsa_system_sgpr_workgroup_info 0
		.amdhsa_system_vgpr_workitem_id 0
		.amdhsa_next_free_vgpr 6
		.amdhsa_next_free_sgpr 8
		.amdhsa_accum_offset 8
		.amdhsa_reserve_vcc 1
		.amdhsa_reserve_flat_scratch 0
		.amdhsa_float_round_mode_32 0
		.amdhsa_float_round_mode_16_64 0
		.amdhsa_float_denorm_mode_32 3
		.amdhsa_float_denorm_mode_16_64 3
		.amdhsa_dx10_clamp 1
		.amdhsa_ieee_mode 1
		.amdhsa_fp16_overflow 0
		.amdhsa_tg_split 0
		.amdhsa_exception_fp_ieee_invalid_op 0
		.amdhsa_exception_fp_denorm_src 0
		.amdhsa_exception_fp_ieee_div_zero 0
		.amdhsa_exception_fp_ieee_overflow 0
		.amdhsa_exception_fp_ieee_underflow 0
		.amdhsa_exception_fp_ieee_inexact 0
		.amdhsa_exception_int_div_zero 0
	.end_amdhsa_kernel
	.section	.text._Z24warp_reduce_valid_kernelIfLj64ELj2EENSt9enable_ifIXsr10test_utilsE35device_test_enabled_for_warp_size_vIXT1_EEEvE4typeEPT_S4_i,"axG",@progbits,_Z24warp_reduce_valid_kernelIfLj64ELj2EENSt9enable_ifIXsr10test_utilsE35device_test_enabled_for_warp_size_vIXT1_EEEvE4typeEPT_S4_i,comdat
.Lfunc_end114:
	.size	_Z24warp_reduce_valid_kernelIfLj64ELj2EENSt9enable_ifIXsr10test_utilsE35device_test_enabled_for_warp_size_vIXT1_EEEvE4typeEPT_S4_i, .Lfunc_end114-_Z24warp_reduce_valid_kernelIfLj64ELj2EENSt9enable_ifIXsr10test_utilsE35device_test_enabled_for_warp_size_vIXT1_EEEvE4typeEPT_S4_i
                                        ; -- End function
	.section	.AMDGPU.csdata,"",@progbits
; Kernel info:
; codeLenInByte = 188
; NumSgprs: 12
; NumVgprs: 6
; NumAgprs: 0
; TotalNumVgprs: 6
; ScratchSize: 0
; MemoryBound: 0
; FloatMode: 240
; IeeeMode: 1
; LDSByteSize: 0 bytes/workgroup (compile time only)
; SGPRBlocks: 1
; VGPRBlocks: 0
; NumSGPRsForWavesPerEU: 12
; NumVGPRsForWavesPerEU: 6
; AccumOffset: 8
; Occupancy: 8
; WaveLimiterHint : 0
; COMPUTE_PGM_RSRC2:SCRATCH_EN: 0
; COMPUTE_PGM_RSRC2:USER_SGPR: 6
; COMPUTE_PGM_RSRC2:TRAP_HANDLER: 0
; COMPUTE_PGM_RSRC2:TGID_X_EN: 1
; COMPUTE_PGM_RSRC2:TGID_Y_EN: 0
; COMPUTE_PGM_RSRC2:TGID_Z_EN: 0
; COMPUTE_PGM_RSRC2:TIDIG_COMP_CNT: 0
; COMPUTE_PGM_RSRC3_GFX90A:ACCUM_OFFSET: 1
; COMPUTE_PGM_RSRC3_GFX90A:TG_SPLIT: 0
	.section	.text._Z24warp_reduce_valid_kernelIfLj32ELj1EENSt9enable_ifIXsr10test_utilsE35device_test_enabled_for_warp_size_vIXT1_EEEvE4typeEPT_S4_i,"axG",@progbits,_Z24warp_reduce_valid_kernelIfLj32ELj1EENSt9enable_ifIXsr10test_utilsE35device_test_enabled_for_warp_size_vIXT1_EEEvE4typeEPT_S4_i,comdat
	.protected	_Z24warp_reduce_valid_kernelIfLj32ELj1EENSt9enable_ifIXsr10test_utilsE35device_test_enabled_for_warp_size_vIXT1_EEEvE4typeEPT_S4_i ; -- Begin function _Z24warp_reduce_valid_kernelIfLj32ELj1EENSt9enable_ifIXsr10test_utilsE35device_test_enabled_for_warp_size_vIXT1_EEEvE4typeEPT_S4_i
	.globl	_Z24warp_reduce_valid_kernelIfLj32ELj1EENSt9enable_ifIXsr10test_utilsE35device_test_enabled_for_warp_size_vIXT1_EEEvE4typeEPT_S4_i
	.p2align	8
	.type	_Z24warp_reduce_valid_kernelIfLj32ELj1EENSt9enable_ifIXsr10test_utilsE35device_test_enabled_for_warp_size_vIXT1_EEEvE4typeEPT_S4_i,@function
_Z24warp_reduce_valid_kernelIfLj32ELj1EENSt9enable_ifIXsr10test_utilsE35device_test_enabled_for_warp_size_vIXT1_EEEvE4typeEPT_S4_i: ; @_Z24warp_reduce_valid_kernelIfLj32ELj1EENSt9enable_ifIXsr10test_utilsE35device_test_enabled_for_warp_size_vIXT1_EEEvE4typeEPT_S4_i
; %bb.0:
	s_load_dword s7, s[4:5], 0x24
	s_load_dwordx4 s[0:3], s[4:5], 0x0
	v_mov_b32_e32 v1, 0
	s_waitcnt lgkmcnt(0)
	s_and_b32 s4, s7, 0xffff
	s_mul_i32 s6, s6, s4
	v_add_u32_e32 v0, s6, v0
	v_lshlrev_b64 v[0:1], 2, v[0:1]
	v_mov_b32_e32 v3, s1
	v_add_co_u32_e32 v2, vcc, s0, v0
	v_addc_co_u32_e32 v3, vcc, v3, v1, vcc
	global_load_dword v2, v[2:3], off
	v_mov_b32_e32 v3, s3
	v_add_co_u32_e32 v0, vcc, s2, v0
	v_addc_co_u32_e32 v1, vcc, v3, v1, vcc
	s_waitcnt vmcnt(0)
	global_store_dword v[0:1], v2, off
	s_endpgm
	.section	.rodata,"a",@progbits
	.p2align	6, 0x0
	.amdhsa_kernel _Z24warp_reduce_valid_kernelIfLj32ELj1EENSt9enable_ifIXsr10test_utilsE35device_test_enabled_for_warp_size_vIXT1_EEEvE4typeEPT_S4_i
		.amdhsa_group_segment_fixed_size 0
		.amdhsa_private_segment_fixed_size 0
		.amdhsa_kernarg_size 280
		.amdhsa_user_sgpr_count 6
		.amdhsa_user_sgpr_private_segment_buffer 1
		.amdhsa_user_sgpr_dispatch_ptr 0
		.amdhsa_user_sgpr_queue_ptr 0
		.amdhsa_user_sgpr_kernarg_segment_ptr 1
		.amdhsa_user_sgpr_dispatch_id 0
		.amdhsa_user_sgpr_flat_scratch_init 0
		.amdhsa_user_sgpr_kernarg_preload_length 0
		.amdhsa_user_sgpr_kernarg_preload_offset 0
		.amdhsa_user_sgpr_private_segment_size 0
		.amdhsa_uses_dynamic_stack 0
		.amdhsa_system_sgpr_private_segment_wavefront_offset 0
		.amdhsa_system_sgpr_workgroup_id_x 1
		.amdhsa_system_sgpr_workgroup_id_y 0
		.amdhsa_system_sgpr_workgroup_id_z 0
		.amdhsa_system_sgpr_workgroup_info 0
		.amdhsa_system_vgpr_workitem_id 0
		.amdhsa_next_free_vgpr 4
		.amdhsa_next_free_sgpr 8
		.amdhsa_accum_offset 4
		.amdhsa_reserve_vcc 1
		.amdhsa_reserve_flat_scratch 0
		.amdhsa_float_round_mode_32 0
		.amdhsa_float_round_mode_16_64 0
		.amdhsa_float_denorm_mode_32 3
		.amdhsa_float_denorm_mode_16_64 3
		.amdhsa_dx10_clamp 1
		.amdhsa_ieee_mode 1
		.amdhsa_fp16_overflow 0
		.amdhsa_tg_split 0
		.amdhsa_exception_fp_ieee_invalid_op 0
		.amdhsa_exception_fp_denorm_src 0
		.amdhsa_exception_fp_ieee_div_zero 0
		.amdhsa_exception_fp_ieee_overflow 0
		.amdhsa_exception_fp_ieee_underflow 0
		.amdhsa_exception_fp_ieee_inexact 0
		.amdhsa_exception_int_div_zero 0
	.end_amdhsa_kernel
	.section	.text._Z24warp_reduce_valid_kernelIfLj32ELj1EENSt9enable_ifIXsr10test_utilsE35device_test_enabled_for_warp_size_vIXT1_EEEvE4typeEPT_S4_i,"axG",@progbits,_Z24warp_reduce_valid_kernelIfLj32ELj1EENSt9enable_ifIXsr10test_utilsE35device_test_enabled_for_warp_size_vIXT1_EEEvE4typeEPT_S4_i,comdat
.Lfunc_end115:
	.size	_Z24warp_reduce_valid_kernelIfLj32ELj1EENSt9enable_ifIXsr10test_utilsE35device_test_enabled_for_warp_size_vIXT1_EEEvE4typeEPT_S4_i, .Lfunc_end115-_Z24warp_reduce_valid_kernelIfLj32ELj1EENSt9enable_ifIXsr10test_utilsE35device_test_enabled_for_warp_size_vIXT1_EEEvE4typeEPT_S4_i
                                        ; -- End function
	.section	.AMDGPU.csdata,"",@progbits
; Kernel info:
; codeLenInByte = 96
; NumSgprs: 12
; NumVgprs: 4
; NumAgprs: 0
; TotalNumVgprs: 4
; ScratchSize: 0
; MemoryBound: 0
; FloatMode: 240
; IeeeMode: 1
; LDSByteSize: 0 bytes/workgroup (compile time only)
; SGPRBlocks: 1
; VGPRBlocks: 0
; NumSGPRsForWavesPerEU: 12
; NumVGPRsForWavesPerEU: 4
; AccumOffset: 4
; Occupancy: 8
; WaveLimiterHint : 0
; COMPUTE_PGM_RSRC2:SCRATCH_EN: 0
; COMPUTE_PGM_RSRC2:USER_SGPR: 6
; COMPUTE_PGM_RSRC2:TRAP_HANDLER: 0
; COMPUTE_PGM_RSRC2:TGID_X_EN: 1
; COMPUTE_PGM_RSRC2:TGID_Y_EN: 0
; COMPUTE_PGM_RSRC2:TGID_Z_EN: 0
; COMPUTE_PGM_RSRC2:TIDIG_COMP_CNT: 0
; COMPUTE_PGM_RSRC3_GFX90A:ACCUM_OFFSET: 0
; COMPUTE_PGM_RSRC3_GFX90A:TG_SPLIT: 0
	.section	.text._Z24warp_reduce_valid_kernelIfLj64ELj1EENSt9enable_ifIXsr10test_utilsE35device_test_enabled_for_warp_size_vIXT1_EEEvE4typeEPT_S4_i,"axG",@progbits,_Z24warp_reduce_valid_kernelIfLj64ELj1EENSt9enable_ifIXsr10test_utilsE35device_test_enabled_for_warp_size_vIXT1_EEEvE4typeEPT_S4_i,comdat
	.protected	_Z24warp_reduce_valid_kernelIfLj64ELj1EENSt9enable_ifIXsr10test_utilsE35device_test_enabled_for_warp_size_vIXT1_EEEvE4typeEPT_S4_i ; -- Begin function _Z24warp_reduce_valid_kernelIfLj64ELj1EENSt9enable_ifIXsr10test_utilsE35device_test_enabled_for_warp_size_vIXT1_EEEvE4typeEPT_S4_i
	.globl	_Z24warp_reduce_valid_kernelIfLj64ELj1EENSt9enable_ifIXsr10test_utilsE35device_test_enabled_for_warp_size_vIXT1_EEEvE4typeEPT_S4_i
	.p2align	8
	.type	_Z24warp_reduce_valid_kernelIfLj64ELj1EENSt9enable_ifIXsr10test_utilsE35device_test_enabled_for_warp_size_vIXT1_EEEvE4typeEPT_S4_i,@function
_Z24warp_reduce_valid_kernelIfLj64ELj1EENSt9enable_ifIXsr10test_utilsE35device_test_enabled_for_warp_size_vIXT1_EEEvE4typeEPT_S4_i: ; @_Z24warp_reduce_valid_kernelIfLj64ELj1EENSt9enable_ifIXsr10test_utilsE35device_test_enabled_for_warp_size_vIXT1_EEEvE4typeEPT_S4_i
; %bb.0:
	s_load_dword s7, s[4:5], 0x24
	s_load_dwordx4 s[0:3], s[4:5], 0x0
	v_mov_b32_e32 v1, 0
	s_waitcnt lgkmcnt(0)
	s_and_b32 s4, s7, 0xffff
	s_mul_i32 s6, s6, s4
	v_add_u32_e32 v0, s6, v0
	v_lshlrev_b64 v[0:1], 2, v[0:1]
	v_mov_b32_e32 v3, s1
	v_add_co_u32_e32 v2, vcc, s0, v0
	v_addc_co_u32_e32 v3, vcc, v3, v1, vcc
	global_load_dword v2, v[2:3], off
	v_mov_b32_e32 v3, s3
	v_add_co_u32_e32 v0, vcc, s2, v0
	v_addc_co_u32_e32 v1, vcc, v3, v1, vcc
	s_waitcnt vmcnt(0)
	global_store_dword v[0:1], v2, off
	s_endpgm
	.section	.rodata,"a",@progbits
	.p2align	6, 0x0
	.amdhsa_kernel _Z24warp_reduce_valid_kernelIfLj64ELj1EENSt9enable_ifIXsr10test_utilsE35device_test_enabled_for_warp_size_vIXT1_EEEvE4typeEPT_S4_i
		.amdhsa_group_segment_fixed_size 0
		.amdhsa_private_segment_fixed_size 0
		.amdhsa_kernarg_size 280
		.amdhsa_user_sgpr_count 6
		.amdhsa_user_sgpr_private_segment_buffer 1
		.amdhsa_user_sgpr_dispatch_ptr 0
		.amdhsa_user_sgpr_queue_ptr 0
		.amdhsa_user_sgpr_kernarg_segment_ptr 1
		.amdhsa_user_sgpr_dispatch_id 0
		.amdhsa_user_sgpr_flat_scratch_init 0
		.amdhsa_user_sgpr_kernarg_preload_length 0
		.amdhsa_user_sgpr_kernarg_preload_offset 0
		.amdhsa_user_sgpr_private_segment_size 0
		.amdhsa_uses_dynamic_stack 0
		.amdhsa_system_sgpr_private_segment_wavefront_offset 0
		.amdhsa_system_sgpr_workgroup_id_x 1
		.amdhsa_system_sgpr_workgroup_id_y 0
		.amdhsa_system_sgpr_workgroup_id_z 0
		.amdhsa_system_sgpr_workgroup_info 0
		.amdhsa_system_vgpr_workitem_id 0
		.amdhsa_next_free_vgpr 4
		.amdhsa_next_free_sgpr 8
		.amdhsa_accum_offset 4
		.amdhsa_reserve_vcc 1
		.amdhsa_reserve_flat_scratch 0
		.amdhsa_float_round_mode_32 0
		.amdhsa_float_round_mode_16_64 0
		.amdhsa_float_denorm_mode_32 3
		.amdhsa_float_denorm_mode_16_64 3
		.amdhsa_dx10_clamp 1
		.amdhsa_ieee_mode 1
		.amdhsa_fp16_overflow 0
		.amdhsa_tg_split 0
		.amdhsa_exception_fp_ieee_invalid_op 0
		.amdhsa_exception_fp_denorm_src 0
		.amdhsa_exception_fp_ieee_div_zero 0
		.amdhsa_exception_fp_ieee_overflow 0
		.amdhsa_exception_fp_ieee_underflow 0
		.amdhsa_exception_fp_ieee_inexact 0
		.amdhsa_exception_int_div_zero 0
	.end_amdhsa_kernel
	.section	.text._Z24warp_reduce_valid_kernelIfLj64ELj1EENSt9enable_ifIXsr10test_utilsE35device_test_enabled_for_warp_size_vIXT1_EEEvE4typeEPT_S4_i,"axG",@progbits,_Z24warp_reduce_valid_kernelIfLj64ELj1EENSt9enable_ifIXsr10test_utilsE35device_test_enabled_for_warp_size_vIXT1_EEEvE4typeEPT_S4_i,comdat
.Lfunc_end116:
	.size	_Z24warp_reduce_valid_kernelIfLj64ELj1EENSt9enable_ifIXsr10test_utilsE35device_test_enabled_for_warp_size_vIXT1_EEEvE4typeEPT_S4_i, .Lfunc_end116-_Z24warp_reduce_valid_kernelIfLj64ELj1EENSt9enable_ifIXsr10test_utilsE35device_test_enabled_for_warp_size_vIXT1_EEEvE4typeEPT_S4_i
                                        ; -- End function
	.section	.AMDGPU.csdata,"",@progbits
; Kernel info:
; codeLenInByte = 96
; NumSgprs: 12
; NumVgprs: 4
; NumAgprs: 0
; TotalNumVgprs: 4
; ScratchSize: 0
; MemoryBound: 0
; FloatMode: 240
; IeeeMode: 1
; LDSByteSize: 0 bytes/workgroup (compile time only)
; SGPRBlocks: 1
; VGPRBlocks: 0
; NumSGPRsForWavesPerEU: 12
; NumVGPRsForWavesPerEU: 4
; AccumOffset: 4
; Occupancy: 8
; WaveLimiterHint : 0
; COMPUTE_PGM_RSRC2:SCRATCH_EN: 0
; COMPUTE_PGM_RSRC2:USER_SGPR: 6
; COMPUTE_PGM_RSRC2:TRAP_HANDLER: 0
; COMPUTE_PGM_RSRC2:TGID_X_EN: 1
; COMPUTE_PGM_RSRC2:TGID_Y_EN: 0
; COMPUTE_PGM_RSRC2:TGID_Z_EN: 0
; COMPUTE_PGM_RSRC2:TIDIG_COMP_CNT: 0
; COMPUTE_PGM_RSRC3_GFX90A:ACCUM_OFFSET: 0
; COMPUTE_PGM_RSRC3_GFX90A:TG_SPLIT: 0
	.section	.text._Z24warp_reduce_valid_kernelIiLj256ELj64EENSt9enable_ifIXsr10test_utilsE35device_test_enabled_for_warp_size_vIXT1_EEEvE4typeEPT_S4_i,"axG",@progbits,_Z24warp_reduce_valid_kernelIiLj256ELj64EENSt9enable_ifIXsr10test_utilsE35device_test_enabled_for_warp_size_vIXT1_EEEvE4typeEPT_S4_i,comdat
	.protected	_Z24warp_reduce_valid_kernelIiLj256ELj64EENSt9enable_ifIXsr10test_utilsE35device_test_enabled_for_warp_size_vIXT1_EEEvE4typeEPT_S4_i ; -- Begin function _Z24warp_reduce_valid_kernelIiLj256ELj64EENSt9enable_ifIXsr10test_utilsE35device_test_enabled_for_warp_size_vIXT1_EEEvE4typeEPT_S4_i
	.globl	_Z24warp_reduce_valid_kernelIiLj256ELj64EENSt9enable_ifIXsr10test_utilsE35device_test_enabled_for_warp_size_vIXT1_EEEvE4typeEPT_S4_i
	.p2align	8
	.type	_Z24warp_reduce_valid_kernelIiLj256ELj64EENSt9enable_ifIXsr10test_utilsE35device_test_enabled_for_warp_size_vIXT1_EEEvE4typeEPT_S4_i,@function
_Z24warp_reduce_valid_kernelIiLj256ELj64EENSt9enable_ifIXsr10test_utilsE35device_test_enabled_for_warp_size_vIXT1_EEEvE4typeEPT_S4_i: ; @_Z24warp_reduce_valid_kernelIiLj256ELj64EENSt9enable_ifIXsr10test_utilsE35device_test_enabled_for_warp_size_vIXT1_EEEvE4typeEPT_S4_i
; %bb.0:
	s_load_dword s8, s[4:5], 0x24
	s_load_dwordx4 s[0:3], s[4:5], 0x0
	s_load_dword s7, s[4:5], 0x10
	v_mov_b32_e32 v3, 0
	s_waitcnt lgkmcnt(0)
	s_and_b32 s4, s8, 0xffff
	s_mul_i32 s6, s6, s4
	v_add_u32_e32 v2, s6, v0
	v_lshlrev_b64 v[4:5], 2, v[2:3]
	v_mov_b32_e32 v1, s1
	v_add_co_u32_e32 v4, vcc, s0, v4
	v_addc_co_u32_e32 v5, vcc, v1, v5, vcc
	global_load_dword v3, v[4:5], off
	v_mbcnt_lo_u32_b32 v1, -1, 0
	v_mbcnt_hi_u32_b32 v1, -1, v1
	v_and_b32_e32 v4, 63, v1
	v_cmp_ne_u32_e32 vcc, 63, v4
	v_addc_co_u32_e32 v10, vcc, 0, v1, vcc
	v_lshlrev_b32_e32 v10, 2, v10
	v_add_u32_e32 v5, 1, v1
	v_cmp_gt_u32_e32 vcc, 62, v4
	v_cndmask_b32_e64 v11, 0, 1, vcc
	v_cmp_gt_u32_e32 vcc, s7, v5
	v_lshlrev_b32_e32 v11, 1, v11
	v_add_lshl_u32 v11, v11, v1, 2
	v_add_u32_e32 v6, 2, v1
	v_add_u32_e32 v7, 4, v1
	v_add_u32_e32 v8, 8, v1
	v_add_u32_e32 v9, 16, v1
	v_and_b32_e32 v0, 63, v0
	s_waitcnt vmcnt(0)
	ds_bpermute_b32 v10, v10, v3
	s_waitcnt lgkmcnt(0)
	v_cndmask_b32_e32 v5, 0, v10, vcc
	v_add_u32_e32 v3, v5, v3
	ds_bpermute_b32 v5, v11, v3
	v_cmp_gt_u32_e32 vcc, 60, v4
	v_cndmask_b32_e64 v10, 0, 1, vcc
	v_cmp_gt_u32_e32 vcc, s7, v6
	v_lshlrev_b32_e32 v10, 2, v10
	s_waitcnt lgkmcnt(0)
	v_cndmask_b32_e32 v5, 0, v5, vcc
	v_add_lshl_u32 v10, v10, v1, 2
	v_add_u32_e32 v3, v3, v5
	ds_bpermute_b32 v5, v10, v3
	v_cmp_gt_u32_e32 vcc, 56, v4
	v_cndmask_b32_e64 v6, 0, 1, vcc
	v_cmp_gt_u32_e32 vcc, s7, v7
	v_lshlrev_b32_e32 v6, 3, v6
	s_waitcnt lgkmcnt(0)
	v_cndmask_b32_e32 v5, 0, v5, vcc
	v_add_lshl_u32 v6, v6, v1, 2
	;; [unrolled: 9-line block ×3, first 2 shown]
	v_add_u32_e32 v3, v3, v5
	ds_bpermute_b32 v5, v6, v3
	v_cmp_gt_u32_e32 vcc, 32, v4
	v_cndmask_b32_e64 v4, 0, 1, vcc
	v_cmp_gt_u32_e32 vcc, s7, v9
	v_lshlrev_b32_e32 v4, 5, v4
	s_waitcnt lgkmcnt(0)
	v_cndmask_b32_e32 v5, 0, v5, vcc
	v_add_u32_e32 v3, v3, v5
	v_add_lshl_u32 v4, v4, v1, 2
	ds_bpermute_b32 v4, v4, v3
	v_cmp_eq_u32_e32 vcc, 0, v0
	s_and_saveexec_b64 s[0:1], vcc
	s_cbranch_execz .LBB117_2
; %bb.1:
	v_add_u32_e32 v1, 32, v1
	v_cmp_gt_u32_e32 vcc, s7, v1
	v_lshrrev_b32_e32 v0, 4, v2
	s_waitcnt lgkmcnt(0)
	v_cndmask_b32_e32 v1, 0, v4, vcc
	v_and_b32_e32 v0, 0xffffffc, v0
	v_add_u32_e32 v1, v3, v1
	global_store_dword v0, v1, s[2:3]
.LBB117_2:
	s_endpgm
	.section	.rodata,"a",@progbits
	.p2align	6, 0x0
	.amdhsa_kernel _Z24warp_reduce_valid_kernelIiLj256ELj64EENSt9enable_ifIXsr10test_utilsE35device_test_enabled_for_warp_size_vIXT1_EEEvE4typeEPT_S4_i
		.amdhsa_group_segment_fixed_size 0
		.amdhsa_private_segment_fixed_size 0
		.amdhsa_kernarg_size 280
		.amdhsa_user_sgpr_count 6
		.amdhsa_user_sgpr_private_segment_buffer 1
		.amdhsa_user_sgpr_dispatch_ptr 0
		.amdhsa_user_sgpr_queue_ptr 0
		.amdhsa_user_sgpr_kernarg_segment_ptr 1
		.amdhsa_user_sgpr_dispatch_id 0
		.amdhsa_user_sgpr_flat_scratch_init 0
		.amdhsa_user_sgpr_kernarg_preload_length 0
		.amdhsa_user_sgpr_kernarg_preload_offset 0
		.amdhsa_user_sgpr_private_segment_size 0
		.amdhsa_uses_dynamic_stack 0
		.amdhsa_system_sgpr_private_segment_wavefront_offset 0
		.amdhsa_system_sgpr_workgroup_id_x 1
		.amdhsa_system_sgpr_workgroup_id_y 0
		.amdhsa_system_sgpr_workgroup_id_z 0
		.amdhsa_system_sgpr_workgroup_info 0
		.amdhsa_system_vgpr_workitem_id 0
		.amdhsa_next_free_vgpr 12
		.amdhsa_next_free_sgpr 9
		.amdhsa_accum_offset 12
		.amdhsa_reserve_vcc 1
		.amdhsa_reserve_flat_scratch 0
		.amdhsa_float_round_mode_32 0
		.amdhsa_float_round_mode_16_64 0
		.amdhsa_float_denorm_mode_32 3
		.amdhsa_float_denorm_mode_16_64 3
		.amdhsa_dx10_clamp 1
		.amdhsa_ieee_mode 1
		.amdhsa_fp16_overflow 0
		.amdhsa_tg_split 0
		.amdhsa_exception_fp_ieee_invalid_op 0
		.amdhsa_exception_fp_denorm_src 0
		.amdhsa_exception_fp_ieee_div_zero 0
		.amdhsa_exception_fp_ieee_overflow 0
		.amdhsa_exception_fp_ieee_underflow 0
		.amdhsa_exception_fp_ieee_inexact 0
		.amdhsa_exception_int_div_zero 0
	.end_amdhsa_kernel
	.section	.text._Z24warp_reduce_valid_kernelIiLj256ELj64EENSt9enable_ifIXsr10test_utilsE35device_test_enabled_for_warp_size_vIXT1_EEEvE4typeEPT_S4_i,"axG",@progbits,_Z24warp_reduce_valid_kernelIiLj256ELj64EENSt9enable_ifIXsr10test_utilsE35device_test_enabled_for_warp_size_vIXT1_EEEvE4typeEPT_S4_i,comdat
.Lfunc_end117:
	.size	_Z24warp_reduce_valid_kernelIiLj256ELj64EENSt9enable_ifIXsr10test_utilsE35device_test_enabled_for_warp_size_vIXT1_EEEvE4typeEPT_S4_i, .Lfunc_end117-_Z24warp_reduce_valid_kernelIiLj256ELj64EENSt9enable_ifIXsr10test_utilsE35device_test_enabled_for_warp_size_vIXT1_EEEvE4typeEPT_S4_i
                                        ; -- End function
	.section	.AMDGPU.csdata,"",@progbits
; Kernel info:
; codeLenInByte = 440
; NumSgprs: 13
; NumVgprs: 12
; NumAgprs: 0
; TotalNumVgprs: 12
; ScratchSize: 0
; MemoryBound: 0
; FloatMode: 240
; IeeeMode: 1
; LDSByteSize: 0 bytes/workgroup (compile time only)
; SGPRBlocks: 1
; VGPRBlocks: 1
; NumSGPRsForWavesPerEU: 13
; NumVGPRsForWavesPerEU: 12
; AccumOffset: 12
; Occupancy: 8
; WaveLimiterHint : 0
; COMPUTE_PGM_RSRC2:SCRATCH_EN: 0
; COMPUTE_PGM_RSRC2:USER_SGPR: 6
; COMPUTE_PGM_RSRC2:TRAP_HANDLER: 0
; COMPUTE_PGM_RSRC2:TGID_X_EN: 1
; COMPUTE_PGM_RSRC2:TGID_Y_EN: 0
; COMPUTE_PGM_RSRC2:TGID_Z_EN: 0
; COMPUTE_PGM_RSRC2:TIDIG_COMP_CNT: 0
; COMPUTE_PGM_RSRC3_GFX90A:ACCUM_OFFSET: 2
; COMPUTE_PGM_RSRC3_GFX90A:TG_SPLIT: 0
	.section	.text._Z24warp_reduce_valid_kernelIiLj128ELj32EENSt9enable_ifIXsr10test_utilsE35device_test_enabled_for_warp_size_vIXT1_EEEvE4typeEPT_S4_i,"axG",@progbits,_Z24warp_reduce_valid_kernelIiLj128ELj32EENSt9enable_ifIXsr10test_utilsE35device_test_enabled_for_warp_size_vIXT1_EEEvE4typeEPT_S4_i,comdat
	.protected	_Z24warp_reduce_valid_kernelIiLj128ELj32EENSt9enable_ifIXsr10test_utilsE35device_test_enabled_for_warp_size_vIXT1_EEEvE4typeEPT_S4_i ; -- Begin function _Z24warp_reduce_valid_kernelIiLj128ELj32EENSt9enable_ifIXsr10test_utilsE35device_test_enabled_for_warp_size_vIXT1_EEEvE4typeEPT_S4_i
	.globl	_Z24warp_reduce_valid_kernelIiLj128ELj32EENSt9enable_ifIXsr10test_utilsE35device_test_enabled_for_warp_size_vIXT1_EEEvE4typeEPT_S4_i
	.p2align	8
	.type	_Z24warp_reduce_valid_kernelIiLj128ELj32EENSt9enable_ifIXsr10test_utilsE35device_test_enabled_for_warp_size_vIXT1_EEEvE4typeEPT_S4_i,@function
_Z24warp_reduce_valid_kernelIiLj128ELj32EENSt9enable_ifIXsr10test_utilsE35device_test_enabled_for_warp_size_vIXT1_EEEvE4typeEPT_S4_i: ; @_Z24warp_reduce_valid_kernelIiLj128ELj32EENSt9enable_ifIXsr10test_utilsE35device_test_enabled_for_warp_size_vIXT1_EEEvE4typeEPT_S4_i
; %bb.0:
	s_load_dword s8, s[4:5], 0x24
	s_load_dwordx4 s[0:3], s[4:5], 0x0
	s_load_dword s7, s[4:5], 0x10
	v_mov_b32_e32 v3, 0
	s_waitcnt lgkmcnt(0)
	s_and_b32 s4, s8, 0xffff
	s_mul_i32 s6, s6, s4
	v_add_u32_e32 v2, s6, v0
	v_lshlrev_b64 v[4:5], 2, v[2:3]
	v_mov_b32_e32 v1, s1
	v_add_co_u32_e32 v4, vcc, s0, v4
	v_addc_co_u32_e32 v5, vcc, v1, v5, vcc
	global_load_dword v3, v[4:5], off
	v_mbcnt_lo_u32_b32 v1, -1, 0
	v_mbcnt_hi_u32_b32 v4, -1, v1
	v_and_b32_e32 v1, 31, v4
	v_cmp_ne_u32_e32 vcc, 31, v1
	v_addc_co_u32_e32 v6, vcc, 0, v4, vcc
	v_lshlrev_b32_e32 v6, 2, v6
	v_cmp_gt_u32_e32 vcc, 30, v1
	v_add_u32_e32 v5, 1, v1
	v_cndmask_b32_e64 v8, 0, 1, vcc
	v_cmp_gt_u32_e32 vcc, 28, v1
	v_cndmask_b32_e64 v10, 0, 1, vcc
	v_cmp_gt_u32_e32 vcc, s7, v5
	v_lshlrev_b32_e32 v8, 1, v8
	v_add_lshl_u32 v8, v8, v4, 2
	v_add_u32_e32 v7, 2, v1
	v_add_u32_e32 v9, 4, v1
	v_and_b32_e32 v0, 31, v0
	s_waitcnt vmcnt(0)
	ds_bpermute_b32 v6, v6, v3
	s_waitcnt lgkmcnt(0)
	v_cndmask_b32_e32 v5, 0, v6, vcc
	v_add_u32_e32 v3, v5, v3
	ds_bpermute_b32 v5, v8, v3
	v_cmp_gt_u32_e32 vcc, s7, v7
	v_lshlrev_b32_e32 v8, 2, v10
	v_add_lshl_u32 v8, v8, v4, 2
	v_add_u32_e32 v6, 8, v1
	s_waitcnt lgkmcnt(0)
	v_cndmask_b32_e32 v5, 0, v5, vcc
	v_add_u32_e32 v3, v3, v5
	ds_bpermute_b32 v5, v8, v3
	v_cmp_gt_u32_e32 vcc, 24, v1
	v_cndmask_b32_e64 v7, 0, 1, vcc
	v_cmp_gt_u32_e32 vcc, s7, v9
	v_lshlrev_b32_e32 v7, 3, v7
	s_waitcnt lgkmcnt(0)
	v_cndmask_b32_e32 v5, 0, v5, vcc
	v_add_lshl_u32 v7, v7, v4, 2
	v_add_u32_e32 v3, v3, v5
	ds_bpermute_b32 v5, v7, v3
	v_cmp_gt_u32_e32 vcc, 16, v1
	v_cndmask_b32_e64 v7, 0, 1, vcc
	v_cmp_gt_u32_e32 vcc, s7, v6
	v_lshlrev_b32_e32 v7, 4, v7
	s_waitcnt lgkmcnt(0)
	v_cndmask_b32_e32 v5, 0, v5, vcc
	v_add_u32_e32 v3, v3, v5
	v_add_lshl_u32 v4, v7, v4, 2
	ds_bpermute_b32 v4, v4, v3
	v_cmp_eq_u32_e32 vcc, 0, v0
	s_and_saveexec_b64 s[0:1], vcc
	s_cbranch_execz .LBB118_2
; %bb.1:
	v_add_u32_e32 v1, 16, v1
	v_cmp_gt_u32_e32 vcc, s7, v1
	v_lshrrev_b32_e32 v0, 3, v2
	s_waitcnt lgkmcnt(0)
	v_cndmask_b32_e32 v1, 0, v4, vcc
	v_and_b32_e32 v0, 0x1ffffffc, v0
	v_add_u32_e32 v1, v3, v1
	global_store_dword v0, v1, s[2:3]
.LBB118_2:
	s_endpgm
	.section	.rodata,"a",@progbits
	.p2align	6, 0x0
	.amdhsa_kernel _Z24warp_reduce_valid_kernelIiLj128ELj32EENSt9enable_ifIXsr10test_utilsE35device_test_enabled_for_warp_size_vIXT1_EEEvE4typeEPT_S4_i
		.amdhsa_group_segment_fixed_size 0
		.amdhsa_private_segment_fixed_size 0
		.amdhsa_kernarg_size 280
		.amdhsa_user_sgpr_count 6
		.amdhsa_user_sgpr_private_segment_buffer 1
		.amdhsa_user_sgpr_dispatch_ptr 0
		.amdhsa_user_sgpr_queue_ptr 0
		.amdhsa_user_sgpr_kernarg_segment_ptr 1
		.amdhsa_user_sgpr_dispatch_id 0
		.amdhsa_user_sgpr_flat_scratch_init 0
		.amdhsa_user_sgpr_kernarg_preload_length 0
		.amdhsa_user_sgpr_kernarg_preload_offset 0
		.amdhsa_user_sgpr_private_segment_size 0
		.amdhsa_uses_dynamic_stack 0
		.amdhsa_system_sgpr_private_segment_wavefront_offset 0
		.amdhsa_system_sgpr_workgroup_id_x 1
		.amdhsa_system_sgpr_workgroup_id_y 0
		.amdhsa_system_sgpr_workgroup_id_z 0
		.amdhsa_system_sgpr_workgroup_info 0
		.amdhsa_system_vgpr_workitem_id 0
		.amdhsa_next_free_vgpr 11
		.amdhsa_next_free_sgpr 9
		.amdhsa_accum_offset 12
		.amdhsa_reserve_vcc 1
		.amdhsa_reserve_flat_scratch 0
		.amdhsa_float_round_mode_32 0
		.amdhsa_float_round_mode_16_64 0
		.amdhsa_float_denorm_mode_32 3
		.amdhsa_float_denorm_mode_16_64 3
		.amdhsa_dx10_clamp 1
		.amdhsa_ieee_mode 1
		.amdhsa_fp16_overflow 0
		.amdhsa_tg_split 0
		.amdhsa_exception_fp_ieee_invalid_op 0
		.amdhsa_exception_fp_denorm_src 0
		.amdhsa_exception_fp_ieee_div_zero 0
		.amdhsa_exception_fp_ieee_overflow 0
		.amdhsa_exception_fp_ieee_underflow 0
		.amdhsa_exception_fp_ieee_inexact 0
		.amdhsa_exception_int_div_zero 0
	.end_amdhsa_kernel
	.section	.text._Z24warp_reduce_valid_kernelIiLj128ELj32EENSt9enable_ifIXsr10test_utilsE35device_test_enabled_for_warp_size_vIXT1_EEEvE4typeEPT_S4_i,"axG",@progbits,_Z24warp_reduce_valid_kernelIiLj128ELj32EENSt9enable_ifIXsr10test_utilsE35device_test_enabled_for_warp_size_vIXT1_EEEvE4typeEPT_S4_i,comdat
.Lfunc_end118:
	.size	_Z24warp_reduce_valid_kernelIiLj128ELj32EENSt9enable_ifIXsr10test_utilsE35device_test_enabled_for_warp_size_vIXT1_EEEvE4typeEPT_S4_i, .Lfunc_end118-_Z24warp_reduce_valid_kernelIiLj128ELj32EENSt9enable_ifIXsr10test_utilsE35device_test_enabled_for_warp_size_vIXT1_EEEvE4typeEPT_S4_i
                                        ; -- End function
	.section	.AMDGPU.csdata,"",@progbits
; Kernel info:
; codeLenInByte = 388
; NumSgprs: 13
; NumVgprs: 11
; NumAgprs: 0
; TotalNumVgprs: 11
; ScratchSize: 0
; MemoryBound: 0
; FloatMode: 240
; IeeeMode: 1
; LDSByteSize: 0 bytes/workgroup (compile time only)
; SGPRBlocks: 1
; VGPRBlocks: 1
; NumSGPRsForWavesPerEU: 13
; NumVGPRsForWavesPerEU: 11
; AccumOffset: 12
; Occupancy: 8
; WaveLimiterHint : 0
; COMPUTE_PGM_RSRC2:SCRATCH_EN: 0
; COMPUTE_PGM_RSRC2:USER_SGPR: 6
; COMPUTE_PGM_RSRC2:TRAP_HANDLER: 0
; COMPUTE_PGM_RSRC2:TGID_X_EN: 1
; COMPUTE_PGM_RSRC2:TGID_Y_EN: 0
; COMPUTE_PGM_RSRC2:TGID_Z_EN: 0
; COMPUTE_PGM_RSRC2:TIDIG_COMP_CNT: 0
; COMPUTE_PGM_RSRC3_GFX90A:ACCUM_OFFSET: 2
; COMPUTE_PGM_RSRC3_GFX90A:TG_SPLIT: 0
	.section	.text._Z24warp_reduce_valid_kernelIiLj64ELj16EENSt9enable_ifIXsr10test_utilsE35device_test_enabled_for_warp_size_vIXT1_EEEvE4typeEPT_S4_i,"axG",@progbits,_Z24warp_reduce_valid_kernelIiLj64ELj16EENSt9enable_ifIXsr10test_utilsE35device_test_enabled_for_warp_size_vIXT1_EEEvE4typeEPT_S4_i,comdat
	.protected	_Z24warp_reduce_valid_kernelIiLj64ELj16EENSt9enable_ifIXsr10test_utilsE35device_test_enabled_for_warp_size_vIXT1_EEEvE4typeEPT_S4_i ; -- Begin function _Z24warp_reduce_valid_kernelIiLj64ELj16EENSt9enable_ifIXsr10test_utilsE35device_test_enabled_for_warp_size_vIXT1_EEEvE4typeEPT_S4_i
	.globl	_Z24warp_reduce_valid_kernelIiLj64ELj16EENSt9enable_ifIXsr10test_utilsE35device_test_enabled_for_warp_size_vIXT1_EEEvE4typeEPT_S4_i
	.p2align	8
	.type	_Z24warp_reduce_valid_kernelIiLj64ELj16EENSt9enable_ifIXsr10test_utilsE35device_test_enabled_for_warp_size_vIXT1_EEEvE4typeEPT_S4_i,@function
_Z24warp_reduce_valid_kernelIiLj64ELj16EENSt9enable_ifIXsr10test_utilsE35device_test_enabled_for_warp_size_vIXT1_EEEvE4typeEPT_S4_i: ; @_Z24warp_reduce_valid_kernelIiLj64ELj16EENSt9enable_ifIXsr10test_utilsE35device_test_enabled_for_warp_size_vIXT1_EEEvE4typeEPT_S4_i
; %bb.0:
	s_load_dword s8, s[4:5], 0x24
	s_load_dwordx4 s[0:3], s[4:5], 0x0
	s_load_dword s7, s[4:5], 0x10
	v_mov_b32_e32 v3, 0
	s_waitcnt lgkmcnt(0)
	s_and_b32 s4, s8, 0xffff
	s_mul_i32 s6, s6, s4
	v_add_u32_e32 v2, s6, v0
	v_lshlrev_b64 v[4:5], 2, v[2:3]
	v_mov_b32_e32 v1, s1
	v_add_co_u32_e32 v4, vcc, s0, v4
	v_addc_co_u32_e32 v5, vcc, v1, v5, vcc
	global_load_dword v3, v[4:5], off
	v_mbcnt_lo_u32_b32 v1, -1, 0
	v_mbcnt_hi_u32_b32 v4, -1, v1
	v_and_b32_e32 v1, 15, v4
	v_cmp_ne_u32_e32 vcc, 15, v1
	v_addc_co_u32_e32 v6, vcc, 0, v4, vcc
	v_lshlrev_b32_e32 v6, 2, v6
	v_add_u32_e32 v5, 1, v1
	v_cmp_gt_u32_e32 vcc, 14, v1
	v_cndmask_b32_e64 v8, 0, 1, vcc
	v_cmp_gt_u32_e32 vcc, s7, v5
	v_lshlrev_b32_e32 v8, 1, v8
	v_add_lshl_u32 v8, v8, v4, 2
	v_add_u32_e32 v7, 2, v1
	v_add_u32_e32 v9, 4, v1
	v_and_b32_e32 v0, 15, v0
	s_waitcnt vmcnt(0)
	ds_bpermute_b32 v6, v6, v3
	s_waitcnt lgkmcnt(0)
	v_cndmask_b32_e32 v5, 0, v6, vcc
	v_add_u32_e32 v3, v5, v3
	ds_bpermute_b32 v5, v8, v3
	v_cmp_gt_u32_e32 vcc, 12, v1
	v_cndmask_b32_e64 v6, 0, 1, vcc
	v_cmp_gt_u32_e32 vcc, s7, v7
	v_lshlrev_b32_e32 v6, 2, v6
	s_waitcnt lgkmcnt(0)
	v_cndmask_b32_e32 v5, 0, v5, vcc
	v_add_lshl_u32 v6, v6, v4, 2
	v_add_u32_e32 v3, v3, v5
	ds_bpermute_b32 v5, v6, v3
	v_cmp_gt_u32_e32 vcc, 8, v1
	v_cndmask_b32_e64 v6, 0, 1, vcc
	v_cmp_gt_u32_e32 vcc, s7, v9
	v_lshlrev_b32_e32 v6, 3, v6
	s_waitcnt lgkmcnt(0)
	v_cndmask_b32_e32 v5, 0, v5, vcc
	v_add_u32_e32 v3, v3, v5
	v_add_lshl_u32 v4, v6, v4, 2
	ds_bpermute_b32 v4, v4, v3
	v_cmp_eq_u32_e32 vcc, 0, v0
	s_and_saveexec_b64 s[0:1], vcc
	s_cbranch_execz .LBB119_2
; %bb.1:
	v_add_u32_e32 v1, 8, v1
	v_cmp_gt_u32_e32 vcc, s7, v1
	v_lshrrev_b32_e32 v0, 2, v2
	s_waitcnt lgkmcnt(0)
	v_cndmask_b32_e32 v1, 0, v4, vcc
	v_and_b32_e32 v0, 0x3ffffffc, v0
	v_add_u32_e32 v1, v3, v1
	global_store_dword v0, v1, s[2:3]
.LBB119_2:
	s_endpgm
	.section	.rodata,"a",@progbits
	.p2align	6, 0x0
	.amdhsa_kernel _Z24warp_reduce_valid_kernelIiLj64ELj16EENSt9enable_ifIXsr10test_utilsE35device_test_enabled_for_warp_size_vIXT1_EEEvE4typeEPT_S4_i
		.amdhsa_group_segment_fixed_size 0
		.amdhsa_private_segment_fixed_size 0
		.amdhsa_kernarg_size 280
		.amdhsa_user_sgpr_count 6
		.amdhsa_user_sgpr_private_segment_buffer 1
		.amdhsa_user_sgpr_dispatch_ptr 0
		.amdhsa_user_sgpr_queue_ptr 0
		.amdhsa_user_sgpr_kernarg_segment_ptr 1
		.amdhsa_user_sgpr_dispatch_id 0
		.amdhsa_user_sgpr_flat_scratch_init 0
		.amdhsa_user_sgpr_kernarg_preload_length 0
		.amdhsa_user_sgpr_kernarg_preload_offset 0
		.amdhsa_user_sgpr_private_segment_size 0
		.amdhsa_uses_dynamic_stack 0
		.amdhsa_system_sgpr_private_segment_wavefront_offset 0
		.amdhsa_system_sgpr_workgroup_id_x 1
		.amdhsa_system_sgpr_workgroup_id_y 0
		.amdhsa_system_sgpr_workgroup_id_z 0
		.amdhsa_system_sgpr_workgroup_info 0
		.amdhsa_system_vgpr_workitem_id 0
		.amdhsa_next_free_vgpr 10
		.amdhsa_next_free_sgpr 9
		.amdhsa_accum_offset 12
		.amdhsa_reserve_vcc 1
		.amdhsa_reserve_flat_scratch 0
		.amdhsa_float_round_mode_32 0
		.amdhsa_float_round_mode_16_64 0
		.amdhsa_float_denorm_mode_32 3
		.amdhsa_float_denorm_mode_16_64 3
		.amdhsa_dx10_clamp 1
		.amdhsa_ieee_mode 1
		.amdhsa_fp16_overflow 0
		.amdhsa_tg_split 0
		.amdhsa_exception_fp_ieee_invalid_op 0
		.amdhsa_exception_fp_denorm_src 0
		.amdhsa_exception_fp_ieee_div_zero 0
		.amdhsa_exception_fp_ieee_overflow 0
		.amdhsa_exception_fp_ieee_underflow 0
		.amdhsa_exception_fp_ieee_inexact 0
		.amdhsa_exception_int_div_zero 0
	.end_amdhsa_kernel
	.section	.text._Z24warp_reduce_valid_kernelIiLj64ELj16EENSt9enable_ifIXsr10test_utilsE35device_test_enabled_for_warp_size_vIXT1_EEEvE4typeEPT_S4_i,"axG",@progbits,_Z24warp_reduce_valid_kernelIiLj64ELj16EENSt9enable_ifIXsr10test_utilsE35device_test_enabled_for_warp_size_vIXT1_EEEvE4typeEPT_S4_i,comdat
.Lfunc_end119:
	.size	_Z24warp_reduce_valid_kernelIiLj64ELj16EENSt9enable_ifIXsr10test_utilsE35device_test_enabled_for_warp_size_vIXT1_EEEvE4typeEPT_S4_i, .Lfunc_end119-_Z24warp_reduce_valid_kernelIiLj64ELj16EENSt9enable_ifIXsr10test_utilsE35device_test_enabled_for_warp_size_vIXT1_EEEvE4typeEPT_S4_i
                                        ; -- End function
	.section	.AMDGPU.csdata,"",@progbits
; Kernel info:
; codeLenInByte = 336
; NumSgprs: 13
; NumVgprs: 10
; NumAgprs: 0
; TotalNumVgprs: 10
; ScratchSize: 0
; MemoryBound: 0
; FloatMode: 240
; IeeeMode: 1
; LDSByteSize: 0 bytes/workgroup (compile time only)
; SGPRBlocks: 1
; VGPRBlocks: 1
; NumSGPRsForWavesPerEU: 13
; NumVGPRsForWavesPerEU: 10
; AccumOffset: 12
; Occupancy: 8
; WaveLimiterHint : 0
; COMPUTE_PGM_RSRC2:SCRATCH_EN: 0
; COMPUTE_PGM_RSRC2:USER_SGPR: 6
; COMPUTE_PGM_RSRC2:TRAP_HANDLER: 0
; COMPUTE_PGM_RSRC2:TGID_X_EN: 1
; COMPUTE_PGM_RSRC2:TGID_Y_EN: 0
; COMPUTE_PGM_RSRC2:TGID_Z_EN: 0
; COMPUTE_PGM_RSRC2:TIDIG_COMP_CNT: 0
; COMPUTE_PGM_RSRC3_GFX90A:ACCUM_OFFSET: 2
; COMPUTE_PGM_RSRC3_GFX90A:TG_SPLIT: 0
	.section	.text._Z24warp_reduce_valid_kernelIiLj32ELj8EENSt9enable_ifIXsr10test_utilsE35device_test_enabled_for_warp_size_vIXT1_EEEvE4typeEPT_S4_i,"axG",@progbits,_Z24warp_reduce_valid_kernelIiLj32ELj8EENSt9enable_ifIXsr10test_utilsE35device_test_enabled_for_warp_size_vIXT1_EEEvE4typeEPT_S4_i,comdat
	.protected	_Z24warp_reduce_valid_kernelIiLj32ELj8EENSt9enable_ifIXsr10test_utilsE35device_test_enabled_for_warp_size_vIXT1_EEEvE4typeEPT_S4_i ; -- Begin function _Z24warp_reduce_valid_kernelIiLj32ELj8EENSt9enable_ifIXsr10test_utilsE35device_test_enabled_for_warp_size_vIXT1_EEEvE4typeEPT_S4_i
	.globl	_Z24warp_reduce_valid_kernelIiLj32ELj8EENSt9enable_ifIXsr10test_utilsE35device_test_enabled_for_warp_size_vIXT1_EEEvE4typeEPT_S4_i
	.p2align	8
	.type	_Z24warp_reduce_valid_kernelIiLj32ELj8EENSt9enable_ifIXsr10test_utilsE35device_test_enabled_for_warp_size_vIXT1_EEEvE4typeEPT_S4_i,@function
_Z24warp_reduce_valid_kernelIiLj32ELj8EENSt9enable_ifIXsr10test_utilsE35device_test_enabled_for_warp_size_vIXT1_EEEvE4typeEPT_S4_i: ; @_Z24warp_reduce_valid_kernelIiLj32ELj8EENSt9enable_ifIXsr10test_utilsE35device_test_enabled_for_warp_size_vIXT1_EEEvE4typeEPT_S4_i
; %bb.0:
	s_load_dword s8, s[4:5], 0x24
	s_load_dwordx4 s[0:3], s[4:5], 0x0
	s_load_dword s7, s[4:5], 0x10
	v_mov_b32_e32 v3, 0
	s_waitcnt lgkmcnt(0)
	s_and_b32 s4, s8, 0xffff
	s_mul_i32 s6, s6, s4
	v_add_u32_e32 v2, s6, v0
	v_lshlrev_b64 v[4:5], 2, v[2:3]
	v_mov_b32_e32 v1, s1
	v_add_co_u32_e32 v4, vcc, s0, v4
	v_addc_co_u32_e32 v5, vcc, v1, v5, vcc
	global_load_dword v3, v[4:5], off
	v_mbcnt_lo_u32_b32 v1, -1, 0
	v_mbcnt_hi_u32_b32 v4, -1, v1
	v_and_b32_e32 v1, 7, v4
	v_cmp_ne_u32_e32 vcc, 7, v1
	v_addc_co_u32_e32 v6, vcc, 0, v4, vcc
	v_lshlrev_b32_e32 v6, 2, v6
	v_add_u32_e32 v5, 1, v1
	v_cmp_gt_u32_e32 vcc, 6, v1
	v_cndmask_b32_e64 v8, 0, 1, vcc
	v_cmp_gt_u32_e32 vcc, s7, v5
	v_lshlrev_b32_e32 v8, 1, v8
	v_add_lshl_u32 v8, v8, v4, 2
	v_add_u32_e32 v7, 2, v1
	v_and_b32_e32 v0, 7, v0
	s_waitcnt vmcnt(0)
	ds_bpermute_b32 v6, v6, v3
	s_waitcnt lgkmcnt(0)
	v_cndmask_b32_e32 v5, 0, v6, vcc
	v_add_u32_e32 v3, v5, v3
	ds_bpermute_b32 v5, v8, v3
	v_cmp_gt_u32_e32 vcc, 4, v1
	v_cndmask_b32_e64 v6, 0, 1, vcc
	v_cmp_gt_u32_e32 vcc, s7, v7
	v_lshlrev_b32_e32 v6, 2, v6
	s_waitcnt lgkmcnt(0)
	v_cndmask_b32_e32 v5, 0, v5, vcc
	v_add_u32_e32 v3, v3, v5
	v_add_lshl_u32 v4, v6, v4, 2
	ds_bpermute_b32 v4, v4, v3
	v_cmp_eq_u32_e32 vcc, 0, v0
	s_and_saveexec_b64 s[0:1], vcc
	s_cbranch_execz .LBB120_2
; %bb.1:
	v_add_u32_e32 v1, 4, v1
	v_cmp_gt_u32_e32 vcc, s7, v1
	v_lshrrev_b32_e32 v0, 1, v2
	s_waitcnt lgkmcnt(0)
	v_cndmask_b32_e32 v1, 0, v4, vcc
	v_and_b32_e32 v0, 0x7ffffffc, v0
	v_add_u32_e32 v1, v3, v1
	global_store_dword v0, v1, s[2:3]
.LBB120_2:
	s_endpgm
	.section	.rodata,"a",@progbits
	.p2align	6, 0x0
	.amdhsa_kernel _Z24warp_reduce_valid_kernelIiLj32ELj8EENSt9enable_ifIXsr10test_utilsE35device_test_enabled_for_warp_size_vIXT1_EEEvE4typeEPT_S4_i
		.amdhsa_group_segment_fixed_size 0
		.amdhsa_private_segment_fixed_size 0
		.amdhsa_kernarg_size 280
		.amdhsa_user_sgpr_count 6
		.amdhsa_user_sgpr_private_segment_buffer 1
		.amdhsa_user_sgpr_dispatch_ptr 0
		.amdhsa_user_sgpr_queue_ptr 0
		.amdhsa_user_sgpr_kernarg_segment_ptr 1
		.amdhsa_user_sgpr_dispatch_id 0
		.amdhsa_user_sgpr_flat_scratch_init 0
		.amdhsa_user_sgpr_kernarg_preload_length 0
		.amdhsa_user_sgpr_kernarg_preload_offset 0
		.amdhsa_user_sgpr_private_segment_size 0
		.amdhsa_uses_dynamic_stack 0
		.amdhsa_system_sgpr_private_segment_wavefront_offset 0
		.amdhsa_system_sgpr_workgroup_id_x 1
		.amdhsa_system_sgpr_workgroup_id_y 0
		.amdhsa_system_sgpr_workgroup_id_z 0
		.amdhsa_system_sgpr_workgroup_info 0
		.amdhsa_system_vgpr_workitem_id 0
		.amdhsa_next_free_vgpr 9
		.amdhsa_next_free_sgpr 9
		.amdhsa_accum_offset 12
		.amdhsa_reserve_vcc 1
		.amdhsa_reserve_flat_scratch 0
		.amdhsa_float_round_mode_32 0
		.amdhsa_float_round_mode_16_64 0
		.amdhsa_float_denorm_mode_32 3
		.amdhsa_float_denorm_mode_16_64 3
		.amdhsa_dx10_clamp 1
		.amdhsa_ieee_mode 1
		.amdhsa_fp16_overflow 0
		.amdhsa_tg_split 0
		.amdhsa_exception_fp_ieee_invalid_op 0
		.amdhsa_exception_fp_denorm_src 0
		.amdhsa_exception_fp_ieee_div_zero 0
		.amdhsa_exception_fp_ieee_overflow 0
		.amdhsa_exception_fp_ieee_underflow 0
		.amdhsa_exception_fp_ieee_inexact 0
		.amdhsa_exception_int_div_zero 0
	.end_amdhsa_kernel
	.section	.text._Z24warp_reduce_valid_kernelIiLj32ELj8EENSt9enable_ifIXsr10test_utilsE35device_test_enabled_for_warp_size_vIXT1_EEEvE4typeEPT_S4_i,"axG",@progbits,_Z24warp_reduce_valid_kernelIiLj32ELj8EENSt9enable_ifIXsr10test_utilsE35device_test_enabled_for_warp_size_vIXT1_EEEvE4typeEPT_S4_i,comdat
.Lfunc_end120:
	.size	_Z24warp_reduce_valid_kernelIiLj32ELj8EENSt9enable_ifIXsr10test_utilsE35device_test_enabled_for_warp_size_vIXT1_EEEvE4typeEPT_S4_i, .Lfunc_end120-_Z24warp_reduce_valid_kernelIiLj32ELj8EENSt9enable_ifIXsr10test_utilsE35device_test_enabled_for_warp_size_vIXT1_EEEvE4typeEPT_S4_i
                                        ; -- End function
	.section	.AMDGPU.csdata,"",@progbits
; Kernel info:
; codeLenInByte = 284
; NumSgprs: 13
; NumVgprs: 9
; NumAgprs: 0
; TotalNumVgprs: 9
; ScratchSize: 0
; MemoryBound: 0
; FloatMode: 240
; IeeeMode: 1
; LDSByteSize: 0 bytes/workgroup (compile time only)
; SGPRBlocks: 1
; VGPRBlocks: 1
; NumSGPRsForWavesPerEU: 13
; NumVGPRsForWavesPerEU: 9
; AccumOffset: 12
; Occupancy: 8
; WaveLimiterHint : 0
; COMPUTE_PGM_RSRC2:SCRATCH_EN: 0
; COMPUTE_PGM_RSRC2:USER_SGPR: 6
; COMPUTE_PGM_RSRC2:TRAP_HANDLER: 0
; COMPUTE_PGM_RSRC2:TGID_X_EN: 1
; COMPUTE_PGM_RSRC2:TGID_Y_EN: 0
; COMPUTE_PGM_RSRC2:TGID_Z_EN: 0
; COMPUTE_PGM_RSRC2:TIDIG_COMP_CNT: 0
; COMPUTE_PGM_RSRC3_GFX90A:ACCUM_OFFSET: 2
; COMPUTE_PGM_RSRC3_GFX90A:TG_SPLIT: 0
	.section	.text._Z24warp_reduce_valid_kernelIiLj64ELj8EENSt9enable_ifIXsr10test_utilsE35device_test_enabled_for_warp_size_vIXT1_EEEvE4typeEPT_S4_i,"axG",@progbits,_Z24warp_reduce_valid_kernelIiLj64ELj8EENSt9enable_ifIXsr10test_utilsE35device_test_enabled_for_warp_size_vIXT1_EEEvE4typeEPT_S4_i,comdat
	.protected	_Z24warp_reduce_valid_kernelIiLj64ELj8EENSt9enable_ifIXsr10test_utilsE35device_test_enabled_for_warp_size_vIXT1_EEEvE4typeEPT_S4_i ; -- Begin function _Z24warp_reduce_valid_kernelIiLj64ELj8EENSt9enable_ifIXsr10test_utilsE35device_test_enabled_for_warp_size_vIXT1_EEEvE4typeEPT_S4_i
	.globl	_Z24warp_reduce_valid_kernelIiLj64ELj8EENSt9enable_ifIXsr10test_utilsE35device_test_enabled_for_warp_size_vIXT1_EEEvE4typeEPT_S4_i
	.p2align	8
	.type	_Z24warp_reduce_valid_kernelIiLj64ELj8EENSt9enable_ifIXsr10test_utilsE35device_test_enabled_for_warp_size_vIXT1_EEEvE4typeEPT_S4_i,@function
_Z24warp_reduce_valid_kernelIiLj64ELj8EENSt9enable_ifIXsr10test_utilsE35device_test_enabled_for_warp_size_vIXT1_EEEvE4typeEPT_S4_i: ; @_Z24warp_reduce_valid_kernelIiLj64ELj8EENSt9enable_ifIXsr10test_utilsE35device_test_enabled_for_warp_size_vIXT1_EEEvE4typeEPT_S4_i
; %bb.0:
	s_load_dword s8, s[4:5], 0x24
	s_load_dwordx4 s[0:3], s[4:5], 0x0
	s_load_dword s7, s[4:5], 0x10
	v_mov_b32_e32 v3, 0
	s_waitcnt lgkmcnt(0)
	s_and_b32 s4, s8, 0xffff
	s_mul_i32 s6, s6, s4
	v_add_u32_e32 v2, s6, v0
	v_lshlrev_b64 v[4:5], 2, v[2:3]
	v_mov_b32_e32 v1, s1
	v_add_co_u32_e32 v4, vcc, s0, v4
	v_addc_co_u32_e32 v5, vcc, v1, v5, vcc
	global_load_dword v3, v[4:5], off
	v_mbcnt_lo_u32_b32 v1, -1, 0
	v_mbcnt_hi_u32_b32 v4, -1, v1
	v_and_b32_e32 v1, 7, v4
	v_cmp_ne_u32_e32 vcc, 7, v1
	v_addc_co_u32_e32 v6, vcc, 0, v4, vcc
	v_lshlrev_b32_e32 v6, 2, v6
	v_add_u32_e32 v5, 1, v1
	v_cmp_gt_u32_e32 vcc, 6, v1
	v_cndmask_b32_e64 v8, 0, 1, vcc
	v_cmp_gt_u32_e32 vcc, s7, v5
	v_lshlrev_b32_e32 v8, 1, v8
	v_add_lshl_u32 v8, v8, v4, 2
	v_add_u32_e32 v7, 2, v1
	v_and_b32_e32 v0, 7, v0
	s_waitcnt vmcnt(0)
	ds_bpermute_b32 v6, v6, v3
	s_waitcnt lgkmcnt(0)
	v_cndmask_b32_e32 v5, 0, v6, vcc
	v_add_u32_e32 v3, v5, v3
	ds_bpermute_b32 v5, v8, v3
	v_cmp_gt_u32_e32 vcc, 4, v1
	v_cndmask_b32_e64 v6, 0, 1, vcc
	v_cmp_gt_u32_e32 vcc, s7, v7
	v_lshlrev_b32_e32 v6, 2, v6
	s_waitcnt lgkmcnt(0)
	v_cndmask_b32_e32 v5, 0, v5, vcc
	v_add_u32_e32 v3, v3, v5
	v_add_lshl_u32 v4, v6, v4, 2
	ds_bpermute_b32 v4, v4, v3
	v_cmp_eq_u32_e32 vcc, 0, v0
	s_and_saveexec_b64 s[0:1], vcc
	s_cbranch_execz .LBB121_2
; %bb.1:
	v_add_u32_e32 v1, 4, v1
	v_cmp_gt_u32_e32 vcc, s7, v1
	v_lshrrev_b32_e32 v0, 1, v2
	s_waitcnt lgkmcnt(0)
	v_cndmask_b32_e32 v1, 0, v4, vcc
	v_and_b32_e32 v0, 0x7ffffffc, v0
	v_add_u32_e32 v1, v3, v1
	global_store_dword v0, v1, s[2:3]
.LBB121_2:
	s_endpgm
	.section	.rodata,"a",@progbits
	.p2align	6, 0x0
	.amdhsa_kernel _Z24warp_reduce_valid_kernelIiLj64ELj8EENSt9enable_ifIXsr10test_utilsE35device_test_enabled_for_warp_size_vIXT1_EEEvE4typeEPT_S4_i
		.amdhsa_group_segment_fixed_size 0
		.amdhsa_private_segment_fixed_size 0
		.amdhsa_kernarg_size 280
		.amdhsa_user_sgpr_count 6
		.amdhsa_user_sgpr_private_segment_buffer 1
		.amdhsa_user_sgpr_dispatch_ptr 0
		.amdhsa_user_sgpr_queue_ptr 0
		.amdhsa_user_sgpr_kernarg_segment_ptr 1
		.amdhsa_user_sgpr_dispatch_id 0
		.amdhsa_user_sgpr_flat_scratch_init 0
		.amdhsa_user_sgpr_kernarg_preload_length 0
		.amdhsa_user_sgpr_kernarg_preload_offset 0
		.amdhsa_user_sgpr_private_segment_size 0
		.amdhsa_uses_dynamic_stack 0
		.amdhsa_system_sgpr_private_segment_wavefront_offset 0
		.amdhsa_system_sgpr_workgroup_id_x 1
		.amdhsa_system_sgpr_workgroup_id_y 0
		.amdhsa_system_sgpr_workgroup_id_z 0
		.amdhsa_system_sgpr_workgroup_info 0
		.amdhsa_system_vgpr_workitem_id 0
		.amdhsa_next_free_vgpr 9
		.amdhsa_next_free_sgpr 9
		.amdhsa_accum_offset 12
		.amdhsa_reserve_vcc 1
		.amdhsa_reserve_flat_scratch 0
		.amdhsa_float_round_mode_32 0
		.amdhsa_float_round_mode_16_64 0
		.amdhsa_float_denorm_mode_32 3
		.amdhsa_float_denorm_mode_16_64 3
		.amdhsa_dx10_clamp 1
		.amdhsa_ieee_mode 1
		.amdhsa_fp16_overflow 0
		.amdhsa_tg_split 0
		.amdhsa_exception_fp_ieee_invalid_op 0
		.amdhsa_exception_fp_denorm_src 0
		.amdhsa_exception_fp_ieee_div_zero 0
		.amdhsa_exception_fp_ieee_overflow 0
		.amdhsa_exception_fp_ieee_underflow 0
		.amdhsa_exception_fp_ieee_inexact 0
		.amdhsa_exception_int_div_zero 0
	.end_amdhsa_kernel
	.section	.text._Z24warp_reduce_valid_kernelIiLj64ELj8EENSt9enable_ifIXsr10test_utilsE35device_test_enabled_for_warp_size_vIXT1_EEEvE4typeEPT_S4_i,"axG",@progbits,_Z24warp_reduce_valid_kernelIiLj64ELj8EENSt9enable_ifIXsr10test_utilsE35device_test_enabled_for_warp_size_vIXT1_EEEvE4typeEPT_S4_i,comdat
.Lfunc_end121:
	.size	_Z24warp_reduce_valid_kernelIiLj64ELj8EENSt9enable_ifIXsr10test_utilsE35device_test_enabled_for_warp_size_vIXT1_EEEvE4typeEPT_S4_i, .Lfunc_end121-_Z24warp_reduce_valid_kernelIiLj64ELj8EENSt9enable_ifIXsr10test_utilsE35device_test_enabled_for_warp_size_vIXT1_EEEvE4typeEPT_S4_i
                                        ; -- End function
	.section	.AMDGPU.csdata,"",@progbits
; Kernel info:
; codeLenInByte = 284
; NumSgprs: 13
; NumVgprs: 9
; NumAgprs: 0
; TotalNumVgprs: 9
; ScratchSize: 0
; MemoryBound: 0
; FloatMode: 240
; IeeeMode: 1
; LDSByteSize: 0 bytes/workgroup (compile time only)
; SGPRBlocks: 1
; VGPRBlocks: 1
; NumSGPRsForWavesPerEU: 13
; NumVGPRsForWavesPerEU: 9
; AccumOffset: 12
; Occupancy: 8
; WaveLimiterHint : 0
; COMPUTE_PGM_RSRC2:SCRATCH_EN: 0
; COMPUTE_PGM_RSRC2:USER_SGPR: 6
; COMPUTE_PGM_RSRC2:TRAP_HANDLER: 0
; COMPUTE_PGM_RSRC2:TGID_X_EN: 1
; COMPUTE_PGM_RSRC2:TGID_Y_EN: 0
; COMPUTE_PGM_RSRC2:TGID_Z_EN: 0
; COMPUTE_PGM_RSRC2:TIDIG_COMP_CNT: 0
; COMPUTE_PGM_RSRC3_GFX90A:ACCUM_OFFSET: 2
; COMPUTE_PGM_RSRC3_GFX90A:TG_SPLIT: 0
	.section	.text._Z24warp_reduce_valid_kernelIiLj32ELj4EENSt9enable_ifIXsr10test_utilsE35device_test_enabled_for_warp_size_vIXT1_EEEvE4typeEPT_S4_i,"axG",@progbits,_Z24warp_reduce_valid_kernelIiLj32ELj4EENSt9enable_ifIXsr10test_utilsE35device_test_enabled_for_warp_size_vIXT1_EEEvE4typeEPT_S4_i,comdat
	.protected	_Z24warp_reduce_valid_kernelIiLj32ELj4EENSt9enable_ifIXsr10test_utilsE35device_test_enabled_for_warp_size_vIXT1_EEEvE4typeEPT_S4_i ; -- Begin function _Z24warp_reduce_valid_kernelIiLj32ELj4EENSt9enable_ifIXsr10test_utilsE35device_test_enabled_for_warp_size_vIXT1_EEEvE4typeEPT_S4_i
	.globl	_Z24warp_reduce_valid_kernelIiLj32ELj4EENSt9enable_ifIXsr10test_utilsE35device_test_enabled_for_warp_size_vIXT1_EEEvE4typeEPT_S4_i
	.p2align	8
	.type	_Z24warp_reduce_valid_kernelIiLj32ELj4EENSt9enable_ifIXsr10test_utilsE35device_test_enabled_for_warp_size_vIXT1_EEEvE4typeEPT_S4_i,@function
_Z24warp_reduce_valid_kernelIiLj32ELj4EENSt9enable_ifIXsr10test_utilsE35device_test_enabled_for_warp_size_vIXT1_EEEvE4typeEPT_S4_i: ; @_Z24warp_reduce_valid_kernelIiLj32ELj4EENSt9enable_ifIXsr10test_utilsE35device_test_enabled_for_warp_size_vIXT1_EEEvE4typeEPT_S4_i
; %bb.0:
	s_load_dword s8, s[4:5], 0x24
	s_load_dwordx4 s[0:3], s[4:5], 0x0
	s_load_dword s7, s[4:5], 0x10
	v_mov_b32_e32 v3, 0
	s_waitcnt lgkmcnt(0)
	s_and_b32 s4, s8, 0xffff
	s_mul_i32 s6, s6, s4
	v_add_u32_e32 v2, s6, v0
	v_lshlrev_b64 v[4:5], 2, v[2:3]
	v_mov_b32_e32 v1, s1
	v_add_co_u32_e32 v4, vcc, s0, v4
	v_addc_co_u32_e32 v5, vcc, v1, v5, vcc
	global_load_dword v3, v[4:5], off
	v_mbcnt_lo_u32_b32 v1, -1, 0
	v_mbcnt_hi_u32_b32 v4, -1, v1
	v_and_b32_e32 v1, 3, v4
	v_cmp_ne_u32_e32 vcc, 3, v1
	v_addc_co_u32_e32 v6, vcc, 0, v4, vcc
	v_lshlrev_b32_e32 v6, 2, v6
	v_add_u32_e32 v5, 1, v1
	v_cmp_gt_u32_e32 vcc, 2, v1
	v_cndmask_b32_e64 v7, 0, 1, vcc
	v_cmp_gt_u32_e32 vcc, s7, v5
	v_lshlrev_b32_e32 v7, 1, v7
	v_add_lshl_u32 v4, v7, v4, 2
	v_and_b32_e32 v0, 3, v0
	s_waitcnt vmcnt(0)
	ds_bpermute_b32 v6, v6, v3
	s_waitcnt lgkmcnt(0)
	v_cndmask_b32_e32 v5, 0, v6, vcc
	v_add_u32_e32 v3, v5, v3
	ds_bpermute_b32 v4, v4, v3
	v_cmp_eq_u32_e32 vcc, 0, v0
	s_and_saveexec_b64 s[0:1], vcc
	s_cbranch_execz .LBB122_2
; %bb.1:
	v_add_u32_e32 v1, 2, v1
	v_cmp_gt_u32_e32 vcc, s7, v1
	s_waitcnt lgkmcnt(0)
	v_cndmask_b32_e32 v1, 0, v4, vcc
	v_and_b32_e32 v0, -4, v2
	v_add_u32_e32 v1, v3, v1
	global_store_dword v0, v1, s[2:3]
.LBB122_2:
	s_endpgm
	.section	.rodata,"a",@progbits
	.p2align	6, 0x0
	.amdhsa_kernel _Z24warp_reduce_valid_kernelIiLj32ELj4EENSt9enable_ifIXsr10test_utilsE35device_test_enabled_for_warp_size_vIXT1_EEEvE4typeEPT_S4_i
		.amdhsa_group_segment_fixed_size 0
		.amdhsa_private_segment_fixed_size 0
		.amdhsa_kernarg_size 280
		.amdhsa_user_sgpr_count 6
		.amdhsa_user_sgpr_private_segment_buffer 1
		.amdhsa_user_sgpr_dispatch_ptr 0
		.amdhsa_user_sgpr_queue_ptr 0
		.amdhsa_user_sgpr_kernarg_segment_ptr 1
		.amdhsa_user_sgpr_dispatch_id 0
		.amdhsa_user_sgpr_flat_scratch_init 0
		.amdhsa_user_sgpr_kernarg_preload_length 0
		.amdhsa_user_sgpr_kernarg_preload_offset 0
		.amdhsa_user_sgpr_private_segment_size 0
		.amdhsa_uses_dynamic_stack 0
		.amdhsa_system_sgpr_private_segment_wavefront_offset 0
		.amdhsa_system_sgpr_workgroup_id_x 1
		.amdhsa_system_sgpr_workgroup_id_y 0
		.amdhsa_system_sgpr_workgroup_id_z 0
		.amdhsa_system_sgpr_workgroup_info 0
		.amdhsa_system_vgpr_workitem_id 0
		.amdhsa_next_free_vgpr 8
		.amdhsa_next_free_sgpr 9
		.amdhsa_accum_offset 8
		.amdhsa_reserve_vcc 1
		.amdhsa_reserve_flat_scratch 0
		.amdhsa_float_round_mode_32 0
		.amdhsa_float_round_mode_16_64 0
		.amdhsa_float_denorm_mode_32 3
		.amdhsa_float_denorm_mode_16_64 3
		.amdhsa_dx10_clamp 1
		.amdhsa_ieee_mode 1
		.amdhsa_fp16_overflow 0
		.amdhsa_tg_split 0
		.amdhsa_exception_fp_ieee_invalid_op 0
		.amdhsa_exception_fp_denorm_src 0
		.amdhsa_exception_fp_ieee_div_zero 0
		.amdhsa_exception_fp_ieee_overflow 0
		.amdhsa_exception_fp_ieee_underflow 0
		.amdhsa_exception_fp_ieee_inexact 0
		.amdhsa_exception_int_div_zero 0
	.end_amdhsa_kernel
	.section	.text._Z24warp_reduce_valid_kernelIiLj32ELj4EENSt9enable_ifIXsr10test_utilsE35device_test_enabled_for_warp_size_vIXT1_EEEvE4typeEPT_S4_i,"axG",@progbits,_Z24warp_reduce_valid_kernelIiLj32ELj4EENSt9enable_ifIXsr10test_utilsE35device_test_enabled_for_warp_size_vIXT1_EEEvE4typeEPT_S4_i,comdat
.Lfunc_end122:
	.size	_Z24warp_reduce_valid_kernelIiLj32ELj4EENSt9enable_ifIXsr10test_utilsE35device_test_enabled_for_warp_size_vIXT1_EEEvE4typeEPT_S4_i, .Lfunc_end122-_Z24warp_reduce_valid_kernelIiLj32ELj4EENSt9enable_ifIXsr10test_utilsE35device_test_enabled_for_warp_size_vIXT1_EEEvE4typeEPT_S4_i
                                        ; -- End function
	.section	.AMDGPU.csdata,"",@progbits
; Kernel info:
; codeLenInByte = 224
; NumSgprs: 13
; NumVgprs: 8
; NumAgprs: 0
; TotalNumVgprs: 8
; ScratchSize: 0
; MemoryBound: 0
; FloatMode: 240
; IeeeMode: 1
; LDSByteSize: 0 bytes/workgroup (compile time only)
; SGPRBlocks: 1
; VGPRBlocks: 0
; NumSGPRsForWavesPerEU: 13
; NumVGPRsForWavesPerEU: 8
; AccumOffset: 8
; Occupancy: 8
; WaveLimiterHint : 0
; COMPUTE_PGM_RSRC2:SCRATCH_EN: 0
; COMPUTE_PGM_RSRC2:USER_SGPR: 6
; COMPUTE_PGM_RSRC2:TRAP_HANDLER: 0
; COMPUTE_PGM_RSRC2:TGID_X_EN: 1
; COMPUTE_PGM_RSRC2:TGID_Y_EN: 0
; COMPUTE_PGM_RSRC2:TGID_Z_EN: 0
; COMPUTE_PGM_RSRC2:TIDIG_COMP_CNT: 0
; COMPUTE_PGM_RSRC3_GFX90A:ACCUM_OFFSET: 1
; COMPUTE_PGM_RSRC3_GFX90A:TG_SPLIT: 0
	.section	.text._Z24warp_reduce_valid_kernelIiLj64ELj4EENSt9enable_ifIXsr10test_utilsE35device_test_enabled_for_warp_size_vIXT1_EEEvE4typeEPT_S4_i,"axG",@progbits,_Z24warp_reduce_valid_kernelIiLj64ELj4EENSt9enable_ifIXsr10test_utilsE35device_test_enabled_for_warp_size_vIXT1_EEEvE4typeEPT_S4_i,comdat
	.protected	_Z24warp_reduce_valid_kernelIiLj64ELj4EENSt9enable_ifIXsr10test_utilsE35device_test_enabled_for_warp_size_vIXT1_EEEvE4typeEPT_S4_i ; -- Begin function _Z24warp_reduce_valid_kernelIiLj64ELj4EENSt9enable_ifIXsr10test_utilsE35device_test_enabled_for_warp_size_vIXT1_EEEvE4typeEPT_S4_i
	.globl	_Z24warp_reduce_valid_kernelIiLj64ELj4EENSt9enable_ifIXsr10test_utilsE35device_test_enabled_for_warp_size_vIXT1_EEEvE4typeEPT_S4_i
	.p2align	8
	.type	_Z24warp_reduce_valid_kernelIiLj64ELj4EENSt9enable_ifIXsr10test_utilsE35device_test_enabled_for_warp_size_vIXT1_EEEvE4typeEPT_S4_i,@function
_Z24warp_reduce_valid_kernelIiLj64ELj4EENSt9enable_ifIXsr10test_utilsE35device_test_enabled_for_warp_size_vIXT1_EEEvE4typeEPT_S4_i: ; @_Z24warp_reduce_valid_kernelIiLj64ELj4EENSt9enable_ifIXsr10test_utilsE35device_test_enabled_for_warp_size_vIXT1_EEEvE4typeEPT_S4_i
; %bb.0:
	s_load_dword s8, s[4:5], 0x24
	s_load_dwordx4 s[0:3], s[4:5], 0x0
	s_load_dword s7, s[4:5], 0x10
	v_mov_b32_e32 v3, 0
	s_waitcnt lgkmcnt(0)
	s_and_b32 s4, s8, 0xffff
	s_mul_i32 s6, s6, s4
	v_add_u32_e32 v2, s6, v0
	v_lshlrev_b64 v[4:5], 2, v[2:3]
	v_mov_b32_e32 v1, s1
	v_add_co_u32_e32 v4, vcc, s0, v4
	v_addc_co_u32_e32 v5, vcc, v1, v5, vcc
	global_load_dword v3, v[4:5], off
	v_mbcnt_lo_u32_b32 v1, -1, 0
	v_mbcnt_hi_u32_b32 v4, -1, v1
	v_and_b32_e32 v1, 3, v4
	v_cmp_ne_u32_e32 vcc, 3, v1
	v_addc_co_u32_e32 v6, vcc, 0, v4, vcc
	v_lshlrev_b32_e32 v6, 2, v6
	v_add_u32_e32 v5, 1, v1
	v_cmp_gt_u32_e32 vcc, 2, v1
	v_cndmask_b32_e64 v7, 0, 1, vcc
	v_cmp_gt_u32_e32 vcc, s7, v5
	v_lshlrev_b32_e32 v7, 1, v7
	v_add_lshl_u32 v4, v7, v4, 2
	v_and_b32_e32 v0, 3, v0
	s_waitcnt vmcnt(0)
	ds_bpermute_b32 v6, v6, v3
	s_waitcnt lgkmcnt(0)
	v_cndmask_b32_e32 v5, 0, v6, vcc
	v_add_u32_e32 v3, v5, v3
	ds_bpermute_b32 v4, v4, v3
	v_cmp_eq_u32_e32 vcc, 0, v0
	s_and_saveexec_b64 s[0:1], vcc
	s_cbranch_execz .LBB123_2
; %bb.1:
	v_add_u32_e32 v1, 2, v1
	v_cmp_gt_u32_e32 vcc, s7, v1
	s_waitcnt lgkmcnt(0)
	v_cndmask_b32_e32 v1, 0, v4, vcc
	v_and_b32_e32 v0, -4, v2
	v_add_u32_e32 v1, v3, v1
	global_store_dword v0, v1, s[2:3]
.LBB123_2:
	s_endpgm
	.section	.rodata,"a",@progbits
	.p2align	6, 0x0
	.amdhsa_kernel _Z24warp_reduce_valid_kernelIiLj64ELj4EENSt9enable_ifIXsr10test_utilsE35device_test_enabled_for_warp_size_vIXT1_EEEvE4typeEPT_S4_i
		.amdhsa_group_segment_fixed_size 0
		.amdhsa_private_segment_fixed_size 0
		.amdhsa_kernarg_size 280
		.amdhsa_user_sgpr_count 6
		.amdhsa_user_sgpr_private_segment_buffer 1
		.amdhsa_user_sgpr_dispatch_ptr 0
		.amdhsa_user_sgpr_queue_ptr 0
		.amdhsa_user_sgpr_kernarg_segment_ptr 1
		.amdhsa_user_sgpr_dispatch_id 0
		.amdhsa_user_sgpr_flat_scratch_init 0
		.amdhsa_user_sgpr_kernarg_preload_length 0
		.amdhsa_user_sgpr_kernarg_preload_offset 0
		.amdhsa_user_sgpr_private_segment_size 0
		.amdhsa_uses_dynamic_stack 0
		.amdhsa_system_sgpr_private_segment_wavefront_offset 0
		.amdhsa_system_sgpr_workgroup_id_x 1
		.amdhsa_system_sgpr_workgroup_id_y 0
		.amdhsa_system_sgpr_workgroup_id_z 0
		.amdhsa_system_sgpr_workgroup_info 0
		.amdhsa_system_vgpr_workitem_id 0
		.amdhsa_next_free_vgpr 8
		.amdhsa_next_free_sgpr 9
		.amdhsa_accum_offset 8
		.amdhsa_reserve_vcc 1
		.amdhsa_reserve_flat_scratch 0
		.amdhsa_float_round_mode_32 0
		.amdhsa_float_round_mode_16_64 0
		.amdhsa_float_denorm_mode_32 3
		.amdhsa_float_denorm_mode_16_64 3
		.amdhsa_dx10_clamp 1
		.amdhsa_ieee_mode 1
		.amdhsa_fp16_overflow 0
		.amdhsa_tg_split 0
		.amdhsa_exception_fp_ieee_invalid_op 0
		.amdhsa_exception_fp_denorm_src 0
		.amdhsa_exception_fp_ieee_div_zero 0
		.amdhsa_exception_fp_ieee_overflow 0
		.amdhsa_exception_fp_ieee_underflow 0
		.amdhsa_exception_fp_ieee_inexact 0
		.amdhsa_exception_int_div_zero 0
	.end_amdhsa_kernel
	.section	.text._Z24warp_reduce_valid_kernelIiLj64ELj4EENSt9enable_ifIXsr10test_utilsE35device_test_enabled_for_warp_size_vIXT1_EEEvE4typeEPT_S4_i,"axG",@progbits,_Z24warp_reduce_valid_kernelIiLj64ELj4EENSt9enable_ifIXsr10test_utilsE35device_test_enabled_for_warp_size_vIXT1_EEEvE4typeEPT_S4_i,comdat
.Lfunc_end123:
	.size	_Z24warp_reduce_valid_kernelIiLj64ELj4EENSt9enable_ifIXsr10test_utilsE35device_test_enabled_for_warp_size_vIXT1_EEEvE4typeEPT_S4_i, .Lfunc_end123-_Z24warp_reduce_valid_kernelIiLj64ELj4EENSt9enable_ifIXsr10test_utilsE35device_test_enabled_for_warp_size_vIXT1_EEEvE4typeEPT_S4_i
                                        ; -- End function
	.section	.AMDGPU.csdata,"",@progbits
; Kernel info:
; codeLenInByte = 224
; NumSgprs: 13
; NumVgprs: 8
; NumAgprs: 0
; TotalNumVgprs: 8
; ScratchSize: 0
; MemoryBound: 0
; FloatMode: 240
; IeeeMode: 1
; LDSByteSize: 0 bytes/workgroup (compile time only)
; SGPRBlocks: 1
; VGPRBlocks: 0
; NumSGPRsForWavesPerEU: 13
; NumVGPRsForWavesPerEU: 8
; AccumOffset: 8
; Occupancy: 8
; WaveLimiterHint : 0
; COMPUTE_PGM_RSRC2:SCRATCH_EN: 0
; COMPUTE_PGM_RSRC2:USER_SGPR: 6
; COMPUTE_PGM_RSRC2:TRAP_HANDLER: 0
; COMPUTE_PGM_RSRC2:TGID_X_EN: 1
; COMPUTE_PGM_RSRC2:TGID_Y_EN: 0
; COMPUTE_PGM_RSRC2:TGID_Z_EN: 0
; COMPUTE_PGM_RSRC2:TIDIG_COMP_CNT: 0
; COMPUTE_PGM_RSRC3_GFX90A:ACCUM_OFFSET: 1
; COMPUTE_PGM_RSRC3_GFX90A:TG_SPLIT: 0
	.section	.text._Z24warp_reduce_valid_kernelIiLj32ELj2EENSt9enable_ifIXsr10test_utilsE35device_test_enabled_for_warp_size_vIXT1_EEEvE4typeEPT_S4_i,"axG",@progbits,_Z24warp_reduce_valid_kernelIiLj32ELj2EENSt9enable_ifIXsr10test_utilsE35device_test_enabled_for_warp_size_vIXT1_EEEvE4typeEPT_S4_i,comdat
	.protected	_Z24warp_reduce_valid_kernelIiLj32ELj2EENSt9enable_ifIXsr10test_utilsE35device_test_enabled_for_warp_size_vIXT1_EEEvE4typeEPT_S4_i ; -- Begin function _Z24warp_reduce_valid_kernelIiLj32ELj2EENSt9enable_ifIXsr10test_utilsE35device_test_enabled_for_warp_size_vIXT1_EEEvE4typeEPT_S4_i
	.globl	_Z24warp_reduce_valid_kernelIiLj32ELj2EENSt9enable_ifIXsr10test_utilsE35device_test_enabled_for_warp_size_vIXT1_EEEvE4typeEPT_S4_i
	.p2align	8
	.type	_Z24warp_reduce_valid_kernelIiLj32ELj2EENSt9enable_ifIXsr10test_utilsE35device_test_enabled_for_warp_size_vIXT1_EEEvE4typeEPT_S4_i,@function
_Z24warp_reduce_valid_kernelIiLj32ELj2EENSt9enable_ifIXsr10test_utilsE35device_test_enabled_for_warp_size_vIXT1_EEEvE4typeEPT_S4_i: ; @_Z24warp_reduce_valid_kernelIiLj32ELj2EENSt9enable_ifIXsr10test_utilsE35device_test_enabled_for_warp_size_vIXT1_EEEvE4typeEPT_S4_i
; %bb.0:
	s_load_dword s7, s[4:5], 0x24
	s_load_dwordx4 s[0:3], s[4:5], 0x0
	v_mov_b32_e32 v3, 0
	s_waitcnt lgkmcnt(0)
	s_and_b32 s7, s7, 0xffff
	s_mul_i32 s6, s6, s7
	v_add_u32_e32 v2, s6, v0
	v_lshlrev_b64 v[4:5], 2, v[2:3]
	v_mov_b32_e32 v1, s1
	v_add_co_u32_e32 v4, vcc, s0, v4
	v_addc_co_u32_e32 v5, vcc, v1, v5, vcc
	global_load_dword v1, v[4:5], off
	v_mbcnt_lo_u32_b32 v4, -1, 0
	v_mbcnt_hi_u32_b32 v5, -1, v4
	v_lshl_or_b32 v4, v5, 2, 4
	v_and_b32_e32 v0, 1, v0
	v_cmp_eq_u32_e32 vcc, 0, v0
	s_waitcnt vmcnt(0)
	ds_bpermute_b32 v4, v4, v1
	s_and_saveexec_b64 s[0:1], vcc
	s_cbranch_execz .LBB124_2
; %bb.1:
	s_load_dword s0, s[4:5], 0x10
	v_lshrrev_b32_e32 v2, 1, v2
	v_lshlrev_b64 v[2:3], 2, v[2:3]
	v_mov_b32_e32 v0, s3
	v_add_co_u32_e32 v2, vcc, s2, v2
	v_addc_co_u32_e32 v3, vcc, v0, v3, vcc
	v_and_b32_e32 v0, 1, v5
	v_add_u32_e32 v0, 1, v0
	s_waitcnt lgkmcnt(0)
	v_cmp_gt_u32_e32 vcc, s0, v0
	v_cndmask_b32_e32 v0, 0, v4, vcc
	v_add_u32_e32 v0, v0, v1
	global_store_dword v[2:3], v0, off
.LBB124_2:
	s_endpgm
	.section	.rodata,"a",@progbits
	.p2align	6, 0x0
	.amdhsa_kernel _Z24warp_reduce_valid_kernelIiLj32ELj2EENSt9enable_ifIXsr10test_utilsE35device_test_enabled_for_warp_size_vIXT1_EEEvE4typeEPT_S4_i
		.amdhsa_group_segment_fixed_size 0
		.amdhsa_private_segment_fixed_size 0
		.amdhsa_kernarg_size 280
		.amdhsa_user_sgpr_count 6
		.amdhsa_user_sgpr_private_segment_buffer 1
		.amdhsa_user_sgpr_dispatch_ptr 0
		.amdhsa_user_sgpr_queue_ptr 0
		.amdhsa_user_sgpr_kernarg_segment_ptr 1
		.amdhsa_user_sgpr_dispatch_id 0
		.amdhsa_user_sgpr_flat_scratch_init 0
		.amdhsa_user_sgpr_kernarg_preload_length 0
		.amdhsa_user_sgpr_kernarg_preload_offset 0
		.amdhsa_user_sgpr_private_segment_size 0
		.amdhsa_uses_dynamic_stack 0
		.amdhsa_system_sgpr_private_segment_wavefront_offset 0
		.amdhsa_system_sgpr_workgroup_id_x 1
		.amdhsa_system_sgpr_workgroup_id_y 0
		.amdhsa_system_sgpr_workgroup_id_z 0
		.amdhsa_system_sgpr_workgroup_info 0
		.amdhsa_system_vgpr_workitem_id 0
		.amdhsa_next_free_vgpr 6
		.amdhsa_next_free_sgpr 8
		.amdhsa_accum_offset 8
		.amdhsa_reserve_vcc 1
		.amdhsa_reserve_flat_scratch 0
		.amdhsa_float_round_mode_32 0
		.amdhsa_float_round_mode_16_64 0
		.amdhsa_float_denorm_mode_32 3
		.amdhsa_float_denorm_mode_16_64 3
		.amdhsa_dx10_clamp 1
		.amdhsa_ieee_mode 1
		.amdhsa_fp16_overflow 0
		.amdhsa_tg_split 0
		.amdhsa_exception_fp_ieee_invalid_op 0
		.amdhsa_exception_fp_denorm_src 0
		.amdhsa_exception_fp_ieee_div_zero 0
		.amdhsa_exception_fp_ieee_overflow 0
		.amdhsa_exception_fp_ieee_underflow 0
		.amdhsa_exception_fp_ieee_inexact 0
		.amdhsa_exception_int_div_zero 0
	.end_amdhsa_kernel
	.section	.text._Z24warp_reduce_valid_kernelIiLj32ELj2EENSt9enable_ifIXsr10test_utilsE35device_test_enabled_for_warp_size_vIXT1_EEEvE4typeEPT_S4_i,"axG",@progbits,_Z24warp_reduce_valid_kernelIiLj32ELj2EENSt9enable_ifIXsr10test_utilsE35device_test_enabled_for_warp_size_vIXT1_EEEvE4typeEPT_S4_i,comdat
.Lfunc_end124:
	.size	_Z24warp_reduce_valid_kernelIiLj32ELj2EENSt9enable_ifIXsr10test_utilsE35device_test_enabled_for_warp_size_vIXT1_EEEvE4typeEPT_S4_i, .Lfunc_end124-_Z24warp_reduce_valid_kernelIiLj32ELj2EENSt9enable_ifIXsr10test_utilsE35device_test_enabled_for_warp_size_vIXT1_EEEvE4typeEPT_S4_i
                                        ; -- End function
	.section	.AMDGPU.csdata,"",@progbits
; Kernel info:
; codeLenInByte = 188
; NumSgprs: 12
; NumVgprs: 6
; NumAgprs: 0
; TotalNumVgprs: 6
; ScratchSize: 0
; MemoryBound: 0
; FloatMode: 240
; IeeeMode: 1
; LDSByteSize: 0 bytes/workgroup (compile time only)
; SGPRBlocks: 1
; VGPRBlocks: 0
; NumSGPRsForWavesPerEU: 12
; NumVGPRsForWavesPerEU: 6
; AccumOffset: 8
; Occupancy: 8
; WaveLimiterHint : 0
; COMPUTE_PGM_RSRC2:SCRATCH_EN: 0
; COMPUTE_PGM_RSRC2:USER_SGPR: 6
; COMPUTE_PGM_RSRC2:TRAP_HANDLER: 0
; COMPUTE_PGM_RSRC2:TGID_X_EN: 1
; COMPUTE_PGM_RSRC2:TGID_Y_EN: 0
; COMPUTE_PGM_RSRC2:TGID_Z_EN: 0
; COMPUTE_PGM_RSRC2:TIDIG_COMP_CNT: 0
; COMPUTE_PGM_RSRC3_GFX90A:ACCUM_OFFSET: 1
; COMPUTE_PGM_RSRC3_GFX90A:TG_SPLIT: 0
	.section	.text._Z24warp_reduce_valid_kernelIiLj64ELj2EENSt9enable_ifIXsr10test_utilsE35device_test_enabled_for_warp_size_vIXT1_EEEvE4typeEPT_S4_i,"axG",@progbits,_Z24warp_reduce_valid_kernelIiLj64ELj2EENSt9enable_ifIXsr10test_utilsE35device_test_enabled_for_warp_size_vIXT1_EEEvE4typeEPT_S4_i,comdat
	.protected	_Z24warp_reduce_valid_kernelIiLj64ELj2EENSt9enable_ifIXsr10test_utilsE35device_test_enabled_for_warp_size_vIXT1_EEEvE4typeEPT_S4_i ; -- Begin function _Z24warp_reduce_valid_kernelIiLj64ELj2EENSt9enable_ifIXsr10test_utilsE35device_test_enabled_for_warp_size_vIXT1_EEEvE4typeEPT_S4_i
	.globl	_Z24warp_reduce_valid_kernelIiLj64ELj2EENSt9enable_ifIXsr10test_utilsE35device_test_enabled_for_warp_size_vIXT1_EEEvE4typeEPT_S4_i
	.p2align	8
	.type	_Z24warp_reduce_valid_kernelIiLj64ELj2EENSt9enable_ifIXsr10test_utilsE35device_test_enabled_for_warp_size_vIXT1_EEEvE4typeEPT_S4_i,@function
_Z24warp_reduce_valid_kernelIiLj64ELj2EENSt9enable_ifIXsr10test_utilsE35device_test_enabled_for_warp_size_vIXT1_EEEvE4typeEPT_S4_i: ; @_Z24warp_reduce_valid_kernelIiLj64ELj2EENSt9enable_ifIXsr10test_utilsE35device_test_enabled_for_warp_size_vIXT1_EEEvE4typeEPT_S4_i
; %bb.0:
	s_load_dword s7, s[4:5], 0x24
	s_load_dwordx4 s[0:3], s[4:5], 0x0
	v_mov_b32_e32 v3, 0
	s_waitcnt lgkmcnt(0)
	s_and_b32 s7, s7, 0xffff
	s_mul_i32 s6, s6, s7
	v_add_u32_e32 v2, s6, v0
	v_lshlrev_b64 v[4:5], 2, v[2:3]
	v_mov_b32_e32 v1, s1
	v_add_co_u32_e32 v4, vcc, s0, v4
	v_addc_co_u32_e32 v5, vcc, v1, v5, vcc
	global_load_dword v1, v[4:5], off
	v_mbcnt_lo_u32_b32 v4, -1, 0
	v_mbcnt_hi_u32_b32 v5, -1, v4
	v_lshl_or_b32 v4, v5, 2, 4
	v_and_b32_e32 v0, 1, v0
	v_cmp_eq_u32_e32 vcc, 0, v0
	s_waitcnt vmcnt(0)
	ds_bpermute_b32 v4, v4, v1
	s_and_saveexec_b64 s[0:1], vcc
	s_cbranch_execz .LBB125_2
; %bb.1:
	s_load_dword s0, s[4:5], 0x10
	v_lshrrev_b32_e32 v2, 1, v2
	v_lshlrev_b64 v[2:3], 2, v[2:3]
	v_mov_b32_e32 v0, s3
	v_add_co_u32_e32 v2, vcc, s2, v2
	v_addc_co_u32_e32 v3, vcc, v0, v3, vcc
	v_and_b32_e32 v0, 1, v5
	v_add_u32_e32 v0, 1, v0
	s_waitcnt lgkmcnt(0)
	v_cmp_gt_u32_e32 vcc, s0, v0
	v_cndmask_b32_e32 v0, 0, v4, vcc
	v_add_u32_e32 v0, v0, v1
	global_store_dword v[2:3], v0, off
.LBB125_2:
	s_endpgm
	.section	.rodata,"a",@progbits
	.p2align	6, 0x0
	.amdhsa_kernel _Z24warp_reduce_valid_kernelIiLj64ELj2EENSt9enable_ifIXsr10test_utilsE35device_test_enabled_for_warp_size_vIXT1_EEEvE4typeEPT_S4_i
		.amdhsa_group_segment_fixed_size 0
		.amdhsa_private_segment_fixed_size 0
		.amdhsa_kernarg_size 280
		.amdhsa_user_sgpr_count 6
		.amdhsa_user_sgpr_private_segment_buffer 1
		.amdhsa_user_sgpr_dispatch_ptr 0
		.amdhsa_user_sgpr_queue_ptr 0
		.amdhsa_user_sgpr_kernarg_segment_ptr 1
		.amdhsa_user_sgpr_dispatch_id 0
		.amdhsa_user_sgpr_flat_scratch_init 0
		.amdhsa_user_sgpr_kernarg_preload_length 0
		.amdhsa_user_sgpr_kernarg_preload_offset 0
		.amdhsa_user_sgpr_private_segment_size 0
		.amdhsa_uses_dynamic_stack 0
		.amdhsa_system_sgpr_private_segment_wavefront_offset 0
		.amdhsa_system_sgpr_workgroup_id_x 1
		.amdhsa_system_sgpr_workgroup_id_y 0
		.amdhsa_system_sgpr_workgroup_id_z 0
		.amdhsa_system_sgpr_workgroup_info 0
		.amdhsa_system_vgpr_workitem_id 0
		.amdhsa_next_free_vgpr 6
		.amdhsa_next_free_sgpr 8
		.amdhsa_accum_offset 8
		.amdhsa_reserve_vcc 1
		.amdhsa_reserve_flat_scratch 0
		.amdhsa_float_round_mode_32 0
		.amdhsa_float_round_mode_16_64 0
		.amdhsa_float_denorm_mode_32 3
		.amdhsa_float_denorm_mode_16_64 3
		.amdhsa_dx10_clamp 1
		.amdhsa_ieee_mode 1
		.amdhsa_fp16_overflow 0
		.amdhsa_tg_split 0
		.amdhsa_exception_fp_ieee_invalid_op 0
		.amdhsa_exception_fp_denorm_src 0
		.amdhsa_exception_fp_ieee_div_zero 0
		.amdhsa_exception_fp_ieee_overflow 0
		.amdhsa_exception_fp_ieee_underflow 0
		.amdhsa_exception_fp_ieee_inexact 0
		.amdhsa_exception_int_div_zero 0
	.end_amdhsa_kernel
	.section	.text._Z24warp_reduce_valid_kernelIiLj64ELj2EENSt9enable_ifIXsr10test_utilsE35device_test_enabled_for_warp_size_vIXT1_EEEvE4typeEPT_S4_i,"axG",@progbits,_Z24warp_reduce_valid_kernelIiLj64ELj2EENSt9enable_ifIXsr10test_utilsE35device_test_enabled_for_warp_size_vIXT1_EEEvE4typeEPT_S4_i,comdat
.Lfunc_end125:
	.size	_Z24warp_reduce_valid_kernelIiLj64ELj2EENSt9enable_ifIXsr10test_utilsE35device_test_enabled_for_warp_size_vIXT1_EEEvE4typeEPT_S4_i, .Lfunc_end125-_Z24warp_reduce_valid_kernelIiLj64ELj2EENSt9enable_ifIXsr10test_utilsE35device_test_enabled_for_warp_size_vIXT1_EEEvE4typeEPT_S4_i
                                        ; -- End function
	.section	.AMDGPU.csdata,"",@progbits
; Kernel info:
; codeLenInByte = 188
; NumSgprs: 12
; NumVgprs: 6
; NumAgprs: 0
; TotalNumVgprs: 6
; ScratchSize: 0
; MemoryBound: 0
; FloatMode: 240
; IeeeMode: 1
; LDSByteSize: 0 bytes/workgroup (compile time only)
; SGPRBlocks: 1
; VGPRBlocks: 0
; NumSGPRsForWavesPerEU: 12
; NumVGPRsForWavesPerEU: 6
; AccumOffset: 8
; Occupancy: 8
; WaveLimiterHint : 0
; COMPUTE_PGM_RSRC2:SCRATCH_EN: 0
; COMPUTE_PGM_RSRC2:USER_SGPR: 6
; COMPUTE_PGM_RSRC2:TRAP_HANDLER: 0
; COMPUTE_PGM_RSRC2:TGID_X_EN: 1
; COMPUTE_PGM_RSRC2:TGID_Y_EN: 0
; COMPUTE_PGM_RSRC2:TGID_Z_EN: 0
; COMPUTE_PGM_RSRC2:TIDIG_COMP_CNT: 0
; COMPUTE_PGM_RSRC3_GFX90A:ACCUM_OFFSET: 1
; COMPUTE_PGM_RSRC3_GFX90A:TG_SPLIT: 0
	.section	.text._Z24warp_reduce_valid_kernelIiLj32ELj1EENSt9enable_ifIXsr10test_utilsE35device_test_enabled_for_warp_size_vIXT1_EEEvE4typeEPT_S4_i,"axG",@progbits,_Z24warp_reduce_valid_kernelIiLj32ELj1EENSt9enable_ifIXsr10test_utilsE35device_test_enabled_for_warp_size_vIXT1_EEEvE4typeEPT_S4_i,comdat
	.protected	_Z24warp_reduce_valid_kernelIiLj32ELj1EENSt9enable_ifIXsr10test_utilsE35device_test_enabled_for_warp_size_vIXT1_EEEvE4typeEPT_S4_i ; -- Begin function _Z24warp_reduce_valid_kernelIiLj32ELj1EENSt9enable_ifIXsr10test_utilsE35device_test_enabled_for_warp_size_vIXT1_EEEvE4typeEPT_S4_i
	.globl	_Z24warp_reduce_valid_kernelIiLj32ELj1EENSt9enable_ifIXsr10test_utilsE35device_test_enabled_for_warp_size_vIXT1_EEEvE4typeEPT_S4_i
	.p2align	8
	.type	_Z24warp_reduce_valid_kernelIiLj32ELj1EENSt9enable_ifIXsr10test_utilsE35device_test_enabled_for_warp_size_vIXT1_EEEvE4typeEPT_S4_i,@function
_Z24warp_reduce_valid_kernelIiLj32ELj1EENSt9enable_ifIXsr10test_utilsE35device_test_enabled_for_warp_size_vIXT1_EEEvE4typeEPT_S4_i: ; @_Z24warp_reduce_valid_kernelIiLj32ELj1EENSt9enable_ifIXsr10test_utilsE35device_test_enabled_for_warp_size_vIXT1_EEEvE4typeEPT_S4_i
; %bb.0:
	s_load_dword s7, s[4:5], 0x24
	s_load_dwordx4 s[0:3], s[4:5], 0x0
	v_mov_b32_e32 v1, 0
	s_waitcnt lgkmcnt(0)
	s_and_b32 s4, s7, 0xffff
	s_mul_i32 s6, s6, s4
	v_add_u32_e32 v0, s6, v0
	v_lshlrev_b64 v[0:1], 2, v[0:1]
	v_mov_b32_e32 v3, s1
	v_add_co_u32_e32 v2, vcc, s0, v0
	v_addc_co_u32_e32 v3, vcc, v3, v1, vcc
	global_load_dword v2, v[2:3], off
	v_mov_b32_e32 v3, s3
	v_add_co_u32_e32 v0, vcc, s2, v0
	v_addc_co_u32_e32 v1, vcc, v3, v1, vcc
	s_waitcnt vmcnt(0)
	global_store_dword v[0:1], v2, off
	s_endpgm
	.section	.rodata,"a",@progbits
	.p2align	6, 0x0
	.amdhsa_kernel _Z24warp_reduce_valid_kernelIiLj32ELj1EENSt9enable_ifIXsr10test_utilsE35device_test_enabled_for_warp_size_vIXT1_EEEvE4typeEPT_S4_i
		.amdhsa_group_segment_fixed_size 0
		.amdhsa_private_segment_fixed_size 0
		.amdhsa_kernarg_size 280
		.amdhsa_user_sgpr_count 6
		.amdhsa_user_sgpr_private_segment_buffer 1
		.amdhsa_user_sgpr_dispatch_ptr 0
		.amdhsa_user_sgpr_queue_ptr 0
		.amdhsa_user_sgpr_kernarg_segment_ptr 1
		.amdhsa_user_sgpr_dispatch_id 0
		.amdhsa_user_sgpr_flat_scratch_init 0
		.amdhsa_user_sgpr_kernarg_preload_length 0
		.amdhsa_user_sgpr_kernarg_preload_offset 0
		.amdhsa_user_sgpr_private_segment_size 0
		.amdhsa_uses_dynamic_stack 0
		.amdhsa_system_sgpr_private_segment_wavefront_offset 0
		.amdhsa_system_sgpr_workgroup_id_x 1
		.amdhsa_system_sgpr_workgroup_id_y 0
		.amdhsa_system_sgpr_workgroup_id_z 0
		.amdhsa_system_sgpr_workgroup_info 0
		.amdhsa_system_vgpr_workitem_id 0
		.amdhsa_next_free_vgpr 4
		.amdhsa_next_free_sgpr 8
		.amdhsa_accum_offset 4
		.amdhsa_reserve_vcc 1
		.amdhsa_reserve_flat_scratch 0
		.amdhsa_float_round_mode_32 0
		.amdhsa_float_round_mode_16_64 0
		.amdhsa_float_denorm_mode_32 3
		.amdhsa_float_denorm_mode_16_64 3
		.amdhsa_dx10_clamp 1
		.amdhsa_ieee_mode 1
		.amdhsa_fp16_overflow 0
		.amdhsa_tg_split 0
		.amdhsa_exception_fp_ieee_invalid_op 0
		.amdhsa_exception_fp_denorm_src 0
		.amdhsa_exception_fp_ieee_div_zero 0
		.amdhsa_exception_fp_ieee_overflow 0
		.amdhsa_exception_fp_ieee_underflow 0
		.amdhsa_exception_fp_ieee_inexact 0
		.amdhsa_exception_int_div_zero 0
	.end_amdhsa_kernel
	.section	.text._Z24warp_reduce_valid_kernelIiLj32ELj1EENSt9enable_ifIXsr10test_utilsE35device_test_enabled_for_warp_size_vIXT1_EEEvE4typeEPT_S4_i,"axG",@progbits,_Z24warp_reduce_valid_kernelIiLj32ELj1EENSt9enable_ifIXsr10test_utilsE35device_test_enabled_for_warp_size_vIXT1_EEEvE4typeEPT_S4_i,comdat
.Lfunc_end126:
	.size	_Z24warp_reduce_valid_kernelIiLj32ELj1EENSt9enable_ifIXsr10test_utilsE35device_test_enabled_for_warp_size_vIXT1_EEEvE4typeEPT_S4_i, .Lfunc_end126-_Z24warp_reduce_valid_kernelIiLj32ELj1EENSt9enable_ifIXsr10test_utilsE35device_test_enabled_for_warp_size_vIXT1_EEEvE4typeEPT_S4_i
                                        ; -- End function
	.section	.AMDGPU.csdata,"",@progbits
; Kernel info:
; codeLenInByte = 96
; NumSgprs: 12
; NumVgprs: 4
; NumAgprs: 0
; TotalNumVgprs: 4
; ScratchSize: 0
; MemoryBound: 0
; FloatMode: 240
; IeeeMode: 1
; LDSByteSize: 0 bytes/workgroup (compile time only)
; SGPRBlocks: 1
; VGPRBlocks: 0
; NumSGPRsForWavesPerEU: 12
; NumVGPRsForWavesPerEU: 4
; AccumOffset: 4
; Occupancy: 8
; WaveLimiterHint : 0
; COMPUTE_PGM_RSRC2:SCRATCH_EN: 0
; COMPUTE_PGM_RSRC2:USER_SGPR: 6
; COMPUTE_PGM_RSRC2:TRAP_HANDLER: 0
; COMPUTE_PGM_RSRC2:TGID_X_EN: 1
; COMPUTE_PGM_RSRC2:TGID_Y_EN: 0
; COMPUTE_PGM_RSRC2:TGID_Z_EN: 0
; COMPUTE_PGM_RSRC2:TIDIG_COMP_CNT: 0
; COMPUTE_PGM_RSRC3_GFX90A:ACCUM_OFFSET: 0
; COMPUTE_PGM_RSRC3_GFX90A:TG_SPLIT: 0
	.section	.text._Z24warp_reduce_valid_kernelIiLj64ELj1EENSt9enable_ifIXsr10test_utilsE35device_test_enabled_for_warp_size_vIXT1_EEEvE4typeEPT_S4_i,"axG",@progbits,_Z24warp_reduce_valid_kernelIiLj64ELj1EENSt9enable_ifIXsr10test_utilsE35device_test_enabled_for_warp_size_vIXT1_EEEvE4typeEPT_S4_i,comdat
	.protected	_Z24warp_reduce_valid_kernelIiLj64ELj1EENSt9enable_ifIXsr10test_utilsE35device_test_enabled_for_warp_size_vIXT1_EEEvE4typeEPT_S4_i ; -- Begin function _Z24warp_reduce_valid_kernelIiLj64ELj1EENSt9enable_ifIXsr10test_utilsE35device_test_enabled_for_warp_size_vIXT1_EEEvE4typeEPT_S4_i
	.globl	_Z24warp_reduce_valid_kernelIiLj64ELj1EENSt9enable_ifIXsr10test_utilsE35device_test_enabled_for_warp_size_vIXT1_EEEvE4typeEPT_S4_i
	.p2align	8
	.type	_Z24warp_reduce_valid_kernelIiLj64ELj1EENSt9enable_ifIXsr10test_utilsE35device_test_enabled_for_warp_size_vIXT1_EEEvE4typeEPT_S4_i,@function
_Z24warp_reduce_valid_kernelIiLj64ELj1EENSt9enable_ifIXsr10test_utilsE35device_test_enabled_for_warp_size_vIXT1_EEEvE4typeEPT_S4_i: ; @_Z24warp_reduce_valid_kernelIiLj64ELj1EENSt9enable_ifIXsr10test_utilsE35device_test_enabled_for_warp_size_vIXT1_EEEvE4typeEPT_S4_i
; %bb.0:
	s_load_dword s7, s[4:5], 0x24
	s_load_dwordx4 s[0:3], s[4:5], 0x0
	v_mov_b32_e32 v1, 0
	s_waitcnt lgkmcnt(0)
	s_and_b32 s4, s7, 0xffff
	s_mul_i32 s6, s6, s4
	v_add_u32_e32 v0, s6, v0
	v_lshlrev_b64 v[0:1], 2, v[0:1]
	v_mov_b32_e32 v3, s1
	v_add_co_u32_e32 v2, vcc, s0, v0
	v_addc_co_u32_e32 v3, vcc, v3, v1, vcc
	global_load_dword v2, v[2:3], off
	v_mov_b32_e32 v3, s3
	v_add_co_u32_e32 v0, vcc, s2, v0
	v_addc_co_u32_e32 v1, vcc, v3, v1, vcc
	s_waitcnt vmcnt(0)
	global_store_dword v[0:1], v2, off
	s_endpgm
	.section	.rodata,"a",@progbits
	.p2align	6, 0x0
	.amdhsa_kernel _Z24warp_reduce_valid_kernelIiLj64ELj1EENSt9enable_ifIXsr10test_utilsE35device_test_enabled_for_warp_size_vIXT1_EEEvE4typeEPT_S4_i
		.amdhsa_group_segment_fixed_size 0
		.amdhsa_private_segment_fixed_size 0
		.amdhsa_kernarg_size 280
		.amdhsa_user_sgpr_count 6
		.amdhsa_user_sgpr_private_segment_buffer 1
		.amdhsa_user_sgpr_dispatch_ptr 0
		.amdhsa_user_sgpr_queue_ptr 0
		.amdhsa_user_sgpr_kernarg_segment_ptr 1
		.amdhsa_user_sgpr_dispatch_id 0
		.amdhsa_user_sgpr_flat_scratch_init 0
		.amdhsa_user_sgpr_kernarg_preload_length 0
		.amdhsa_user_sgpr_kernarg_preload_offset 0
		.amdhsa_user_sgpr_private_segment_size 0
		.amdhsa_uses_dynamic_stack 0
		.amdhsa_system_sgpr_private_segment_wavefront_offset 0
		.amdhsa_system_sgpr_workgroup_id_x 1
		.amdhsa_system_sgpr_workgroup_id_y 0
		.amdhsa_system_sgpr_workgroup_id_z 0
		.amdhsa_system_sgpr_workgroup_info 0
		.amdhsa_system_vgpr_workitem_id 0
		.amdhsa_next_free_vgpr 4
		.amdhsa_next_free_sgpr 8
		.amdhsa_accum_offset 4
		.amdhsa_reserve_vcc 1
		.amdhsa_reserve_flat_scratch 0
		.amdhsa_float_round_mode_32 0
		.amdhsa_float_round_mode_16_64 0
		.amdhsa_float_denorm_mode_32 3
		.amdhsa_float_denorm_mode_16_64 3
		.amdhsa_dx10_clamp 1
		.amdhsa_ieee_mode 1
		.amdhsa_fp16_overflow 0
		.amdhsa_tg_split 0
		.amdhsa_exception_fp_ieee_invalid_op 0
		.amdhsa_exception_fp_denorm_src 0
		.amdhsa_exception_fp_ieee_div_zero 0
		.amdhsa_exception_fp_ieee_overflow 0
		.amdhsa_exception_fp_ieee_underflow 0
		.amdhsa_exception_fp_ieee_inexact 0
		.amdhsa_exception_int_div_zero 0
	.end_amdhsa_kernel
	.section	.text._Z24warp_reduce_valid_kernelIiLj64ELj1EENSt9enable_ifIXsr10test_utilsE35device_test_enabled_for_warp_size_vIXT1_EEEvE4typeEPT_S4_i,"axG",@progbits,_Z24warp_reduce_valid_kernelIiLj64ELj1EENSt9enable_ifIXsr10test_utilsE35device_test_enabled_for_warp_size_vIXT1_EEEvE4typeEPT_S4_i,comdat
.Lfunc_end127:
	.size	_Z24warp_reduce_valid_kernelIiLj64ELj1EENSt9enable_ifIXsr10test_utilsE35device_test_enabled_for_warp_size_vIXT1_EEEvE4typeEPT_S4_i, .Lfunc_end127-_Z24warp_reduce_valid_kernelIiLj64ELj1EENSt9enable_ifIXsr10test_utilsE35device_test_enabled_for_warp_size_vIXT1_EEEvE4typeEPT_S4_i
                                        ; -- End function
	.section	.AMDGPU.csdata,"",@progbits
; Kernel info:
; codeLenInByte = 96
; NumSgprs: 12
; NumVgprs: 4
; NumAgprs: 0
; TotalNumVgprs: 4
; ScratchSize: 0
; MemoryBound: 0
; FloatMode: 240
; IeeeMode: 1
; LDSByteSize: 0 bytes/workgroup (compile time only)
; SGPRBlocks: 1
; VGPRBlocks: 0
; NumSGPRsForWavesPerEU: 12
; NumVGPRsForWavesPerEU: 4
; AccumOffset: 4
; Occupancy: 8
; WaveLimiterHint : 0
; COMPUTE_PGM_RSRC2:SCRATCH_EN: 0
; COMPUTE_PGM_RSRC2:USER_SGPR: 6
; COMPUTE_PGM_RSRC2:TRAP_HANDLER: 0
; COMPUTE_PGM_RSRC2:TGID_X_EN: 1
; COMPUTE_PGM_RSRC2:TGID_Y_EN: 0
; COMPUTE_PGM_RSRC2:TGID_Z_EN: 0
; COMPUTE_PGM_RSRC2:TIDIG_COMP_CNT: 0
; COMPUTE_PGM_RSRC3_GFX90A:ACCUM_OFFSET: 0
; COMPUTE_PGM_RSRC3_GFX90A:TG_SPLIT: 0
	.section	.text._Z33head_segmented_warp_reduce_kernelIfhLj1ELj61EENSt9enable_ifIXsr10test_utilsE35device_test_enabled_for_warp_size_vIXT2_EEEvE4typeEPT_PT0_S4_,"axG",@progbits,_Z33head_segmented_warp_reduce_kernelIfhLj1ELj61EENSt9enable_ifIXsr10test_utilsE35device_test_enabled_for_warp_size_vIXT2_EEEvE4typeEPT_PT0_S4_,comdat
	.protected	_Z33head_segmented_warp_reduce_kernelIfhLj1ELj61EENSt9enable_ifIXsr10test_utilsE35device_test_enabled_for_warp_size_vIXT2_EEEvE4typeEPT_PT0_S4_ ; -- Begin function _Z33head_segmented_warp_reduce_kernelIfhLj1ELj61EENSt9enable_ifIXsr10test_utilsE35device_test_enabled_for_warp_size_vIXT2_EEEvE4typeEPT_PT0_S4_
	.globl	_Z33head_segmented_warp_reduce_kernelIfhLj1ELj61EENSt9enable_ifIXsr10test_utilsE35device_test_enabled_for_warp_size_vIXT2_EEEvE4typeEPT_PT0_S4_
	.p2align	8
	.type	_Z33head_segmented_warp_reduce_kernelIfhLj1ELj61EENSt9enable_ifIXsr10test_utilsE35device_test_enabled_for_warp_size_vIXT2_EEEvE4typeEPT_PT0_S4_,@function
_Z33head_segmented_warp_reduce_kernelIfhLj1ELj61EENSt9enable_ifIXsr10test_utilsE35device_test_enabled_for_warp_size_vIXT2_EEEvE4typeEPT_PT0_S4_: ; @_Z33head_segmented_warp_reduce_kernelIfhLj1ELj61EENSt9enable_ifIXsr10test_utilsE35device_test_enabled_for_warp_size_vIXT2_EEEvE4typeEPT_PT0_S4_
; %bb.0:
	s_load_dword s0, s[4:5], 0x24
	s_load_dwordx4 s[8:11], s[4:5], 0x0
	s_mov_b32 s1, 0
	s_mov_b32 s2, 0x4325c54
	s_waitcnt lgkmcnt(0)
	s_and_b32 s0, s0, 0xffff
	s_mul_i32 s0, s6, s0
	v_mov_b32_e32 v0, s0
	global_load_ubyte v1, v0, s[10:11]
	v_mbcnt_lo_u32_b32 v0, -1, 0
	v_mbcnt_hi_u32_b32 v0, -1, v0
	s_lshl_b64 s[0:1], s[0:1], 2
	v_mul_hi_u32 v4, v0, s2
	s_add_u32 s2, s8, s0
	v_lshlrev_b64 v[2:3], v0, -1
	s_addc_u32 s3, s9, s1
	v_mul_u32_u24_e32 v4, 61, v4
	s_load_dword s2, s[2:3], 0x0
	v_sub_u32_e32 v5, v0, v4
	v_readfirstlane_b32 s6, v5
	v_lshlrev_b32_e32 v0, 2, v5
	s_waitcnt lgkmcnt(0)
	v_mov_b32_e32 v6, s2
	ds_write_b32 v0, v6
	; wave barrier
	s_waitcnt vmcnt(0)
	v_cmp_ne_u16_e32 vcc, 0, v1
	s_lshr_b64 s[8:9], vcc, 1
	v_and_b32_e32 v3, s9, v3
	v_and_b32_e32 v2, s8, v2
	v_lshrrev_b64 v[2:3], v4, v[2:3]
	v_or_b32_e32 v1, 0x10000000, v3
	v_ffbl_b32_e32 v1, v1
	v_ffbl_b32_e32 v2, v2
	v_add_u32_e32 v1, 32, v1
	v_min_u32_e32 v1, v2, v1
	v_cmp_ge_u32_e32 vcc, v5, v1
	v_readfirstlane_b32 s7, v1
	s_and_b64 s[8:9], vcc, exec
	s_cbranch_scc1 .LBB128_2
; %bb.1:
	ds_read_b32 v1, v0 offset:4
	s_waitcnt lgkmcnt(0)
	v_add_f32_e32 v1, s2, v1
	s_branch .LBB128_3
.LBB128_2:
	v_mov_b32_e32 v1, s2
.LBB128_3:
	s_add_i32 s2, s6, 2
	s_cmp_gt_u32 s2, s7
	; wave barrier
	ds_write_b32 v0, v1
	; wave barrier
	s_cbranch_scc1 .LBB128_5
; %bb.4:
	ds_read_b32 v2, v0 offset:8
	s_waitcnt lgkmcnt(0)
	v_add_f32_e32 v1, v1, v2
.LBB128_5:
	s_add_i32 s2, s6, 4
	s_cmp_gt_u32 s2, s7
	; wave barrier
	ds_write_b32 v0, v1
	; wave barrier
	s_cbranch_scc1 .LBB128_7
; %bb.6:
	ds_read_b32 v2, v0 offset:16
	s_waitcnt lgkmcnt(0)
	v_add_f32_e32 v1, v1, v2
.LBB128_7:
	s_load_dwordx2 s[2:3], s[4:5], 0x10
	s_add_i32 s4, s6, 8
	s_cmp_gt_u32 s4, s7
	; wave barrier
	ds_write_b32 v0, v1
	; wave barrier
	s_cbranch_scc1 .LBB128_9
; %bb.8:
	ds_read_b32 v2, v0 offset:32
	s_waitcnt lgkmcnt(0)
	v_add_f32_e32 v1, v1, v2
.LBB128_9:
	s_add_i32 s4, s6, 16
	s_cmp_gt_u32 s4, s7
	; wave barrier
	ds_write_b32 v0, v1
	; wave barrier
	s_cbranch_scc1 .LBB128_11
; %bb.10:
	ds_read_b32 v2, v0 offset:64
	s_waitcnt lgkmcnt(0)
	v_add_f32_e32 v1, v1, v2
.LBB128_11:
	;; [unrolled: 11-line block ×3, first 2 shown]
	s_waitcnt lgkmcnt(0)
	s_add_u32 s0, s2, s0
	s_addc_u32 s1, s3, s1
	v_mov_b32_e32 v0, 0
	; wave barrier
	global_store_dword v0, v1, s[0:1]
	s_endpgm
	.section	.rodata,"a",@progbits
	.p2align	6, 0x0
	.amdhsa_kernel _Z33head_segmented_warp_reduce_kernelIfhLj1ELj61EENSt9enable_ifIXsr10test_utilsE35device_test_enabled_for_warp_size_vIXT2_EEEvE4typeEPT_PT0_S4_
		.amdhsa_group_segment_fixed_size 244
		.amdhsa_private_segment_fixed_size 0
		.amdhsa_kernarg_size 280
		.amdhsa_user_sgpr_count 6
		.amdhsa_user_sgpr_private_segment_buffer 1
		.amdhsa_user_sgpr_dispatch_ptr 0
		.amdhsa_user_sgpr_queue_ptr 0
		.amdhsa_user_sgpr_kernarg_segment_ptr 1
		.amdhsa_user_sgpr_dispatch_id 0
		.amdhsa_user_sgpr_flat_scratch_init 0
		.amdhsa_user_sgpr_kernarg_preload_length 0
		.amdhsa_user_sgpr_kernarg_preload_offset 0
		.amdhsa_user_sgpr_private_segment_size 0
		.amdhsa_uses_dynamic_stack 0
		.amdhsa_system_sgpr_private_segment_wavefront_offset 0
		.amdhsa_system_sgpr_workgroup_id_x 1
		.amdhsa_system_sgpr_workgroup_id_y 0
		.amdhsa_system_sgpr_workgroup_id_z 0
		.amdhsa_system_sgpr_workgroup_info 0
		.amdhsa_system_vgpr_workitem_id 0
		.amdhsa_next_free_vgpr 7
		.amdhsa_next_free_sgpr 12
		.amdhsa_accum_offset 8
		.amdhsa_reserve_vcc 1
		.amdhsa_reserve_flat_scratch 0
		.amdhsa_float_round_mode_32 0
		.amdhsa_float_round_mode_16_64 0
		.amdhsa_float_denorm_mode_32 3
		.amdhsa_float_denorm_mode_16_64 3
		.amdhsa_dx10_clamp 1
		.amdhsa_ieee_mode 1
		.amdhsa_fp16_overflow 0
		.amdhsa_tg_split 0
		.amdhsa_exception_fp_ieee_invalid_op 0
		.amdhsa_exception_fp_denorm_src 0
		.amdhsa_exception_fp_ieee_div_zero 0
		.amdhsa_exception_fp_ieee_overflow 0
		.amdhsa_exception_fp_ieee_underflow 0
		.amdhsa_exception_fp_ieee_inexact 0
		.amdhsa_exception_int_div_zero 0
	.end_amdhsa_kernel
	.section	.text._Z33head_segmented_warp_reduce_kernelIfhLj1ELj61EENSt9enable_ifIXsr10test_utilsE35device_test_enabled_for_warp_size_vIXT2_EEEvE4typeEPT_PT0_S4_,"axG",@progbits,_Z33head_segmented_warp_reduce_kernelIfhLj1ELj61EENSt9enable_ifIXsr10test_utilsE35device_test_enabled_for_warp_size_vIXT2_EEEvE4typeEPT_PT0_S4_,comdat
.Lfunc_end128:
	.size	_Z33head_segmented_warp_reduce_kernelIfhLj1ELj61EENSt9enable_ifIXsr10test_utilsE35device_test_enabled_for_warp_size_vIXT2_EEEvE4typeEPT_PT0_S4_, .Lfunc_end128-_Z33head_segmented_warp_reduce_kernelIfhLj1ELj61EENSt9enable_ifIXsr10test_utilsE35device_test_enabled_for_warp_size_vIXT2_EEEvE4typeEPT_PT0_S4_
                                        ; -- End function
	.section	.AMDGPU.csdata,"",@progbits
; Kernel info:
; codeLenInByte = 448
; NumSgprs: 16
; NumVgprs: 7
; NumAgprs: 0
; TotalNumVgprs: 7
; ScratchSize: 0
; MemoryBound: 0
; FloatMode: 240
; IeeeMode: 1
; LDSByteSize: 244 bytes/workgroup (compile time only)
; SGPRBlocks: 1
; VGPRBlocks: 0
; NumSGPRsForWavesPerEU: 16
; NumVGPRsForWavesPerEU: 7
; AccumOffset: 8
; Occupancy: 8
; WaveLimiterHint : 0
; COMPUTE_PGM_RSRC2:SCRATCH_EN: 0
; COMPUTE_PGM_RSRC2:USER_SGPR: 6
; COMPUTE_PGM_RSRC2:TRAP_HANDLER: 0
; COMPUTE_PGM_RSRC2:TGID_X_EN: 1
; COMPUTE_PGM_RSRC2:TGID_Y_EN: 0
; COMPUTE_PGM_RSRC2:TGID_Z_EN: 0
; COMPUTE_PGM_RSRC2:TIDIG_COMP_CNT: 0
; COMPUTE_PGM_RSRC3_GFX90A:ACCUM_OFFSET: 1
; COMPUTE_PGM_RSRC3_GFX90A:TG_SPLIT: 0
	.section	.text._Z33head_segmented_warp_reduce_kernelIfhLj61ELj61EENSt9enable_ifIXsr10test_utilsE35device_test_enabled_for_warp_size_vIXT2_EEEvE4typeEPT_PT0_S4_,"axG",@progbits,_Z33head_segmented_warp_reduce_kernelIfhLj61ELj61EENSt9enable_ifIXsr10test_utilsE35device_test_enabled_for_warp_size_vIXT2_EEEvE4typeEPT_PT0_S4_,comdat
	.protected	_Z33head_segmented_warp_reduce_kernelIfhLj61ELj61EENSt9enable_ifIXsr10test_utilsE35device_test_enabled_for_warp_size_vIXT2_EEEvE4typeEPT_PT0_S4_ ; -- Begin function _Z33head_segmented_warp_reduce_kernelIfhLj61ELj61EENSt9enable_ifIXsr10test_utilsE35device_test_enabled_for_warp_size_vIXT2_EEEvE4typeEPT_PT0_S4_
	.globl	_Z33head_segmented_warp_reduce_kernelIfhLj61ELj61EENSt9enable_ifIXsr10test_utilsE35device_test_enabled_for_warp_size_vIXT2_EEEvE4typeEPT_PT0_S4_
	.p2align	8
	.type	_Z33head_segmented_warp_reduce_kernelIfhLj61ELj61EENSt9enable_ifIXsr10test_utilsE35device_test_enabled_for_warp_size_vIXT2_EEEvE4typeEPT_PT0_S4_,@function
_Z33head_segmented_warp_reduce_kernelIfhLj61ELj61EENSt9enable_ifIXsr10test_utilsE35device_test_enabled_for_warp_size_vIXT2_EEEvE4typeEPT_PT0_S4_: ; @_Z33head_segmented_warp_reduce_kernelIfhLj61ELj61EENSt9enable_ifIXsr10test_utilsE35device_test_enabled_for_warp_size_vIXT2_EEEvE4typeEPT_PT0_S4_
; %bb.0:
	s_load_dword s7, s[4:5], 0x24
	s_load_dwordx4 s[0:3], s[4:5], 0x0
	v_mov_b32_e32 v5, 0
	s_waitcnt lgkmcnt(0)
	s_and_b32 s7, s7, 0xffff
	s_mul_i32 s6, s6, s7
	v_add_u32_e32 v4, s6, v0
	global_load_ubyte v8, v4, s[2:3]
	v_lshlrev_b64 v[2:3], 2, v[4:5]
	v_mov_b32_e32 v1, s1
	v_add_co_u32_e32 v4, vcc, s0, v2
	v_addc_co_u32_e32 v5, vcc, v1, v3, vcc
	global_load_dword v1, v[4:5], off
	v_mbcnt_lo_u32_b32 v4, -1, 0
	s_mov_b32 s0, 0x4325c54
	v_mbcnt_hi_u32_b32 v4, -1, v4
	v_mul_hi_u32 v5, v4, s0
	v_mul_u32_u24_e32 v5, 61, v5
	v_mul_u32_u24_e32 v0, 0x433, v0
	v_lshlrev_b64 v[6:7], v4, -1
	v_sub_u32_e32 v4, v4, v5
	s_movk_i32 s1, 0xf4
	v_lshrrev_b32_e32 v0, 16, v0
	v_lshlrev_b32_e32 v9, 2, v4
	v_mad_u32_u24 v0, v0, s1, v9
	s_waitcnt vmcnt(1)
	v_cmp_ne_u16_e32 vcc, 0, v8
	s_lshr_b64 s[0:1], vcc, 1
	v_and_b32_e32 v7, s1, v7
	v_and_b32_e32 v6, s0, v6
	v_lshrrev_b64 v[6:7], v5, v[6:7]
	v_or_b32_e32 v5, 0x10000000, v7
	v_ffbl_b32_e32 v5, v5
	v_ffbl_b32_e32 v6, v6
	v_add_u32_e32 v5, 32, v5
	v_min_u32_e32 v5, v6, v5
	v_cmp_lt_u32_e32 vcc, v4, v5
	s_waitcnt vmcnt(0)
	ds_write_b32 v0, v1
	; wave barrier
	s_and_saveexec_b64 s[0:1], vcc
	s_cbranch_execz .LBB129_2
; %bb.1:
	ds_read_b32 v6, v0 offset:4
	s_waitcnt lgkmcnt(0)
	v_add_f32_e32 v1, v1, v6
.LBB129_2:
	s_or_b64 exec, exec, s[0:1]
	v_add_u32_e32 v6, 2, v4
	v_cmp_le_u32_e32 vcc, v6, v5
	; wave barrier
	ds_write_b32 v0, v1
	; wave barrier
	s_and_saveexec_b64 s[0:1], vcc
	s_cbranch_execz .LBB129_4
; %bb.3:
	ds_read_b32 v6, v0 offset:8
	s_waitcnt lgkmcnt(0)
	v_add_f32_e32 v1, v1, v6
.LBB129_4:
	s_or_b64 exec, exec, s[0:1]
	v_add_u32_e32 v6, 4, v4
	v_cmp_le_u32_e32 vcc, v6, v5
	; wave barrier
	ds_write_b32 v0, v1
	; wave barrier
	s_and_saveexec_b64 s[0:1], vcc
	s_cbranch_execz .LBB129_6
; %bb.5:
	ds_read_b32 v6, v0 offset:16
	s_waitcnt lgkmcnt(0)
	v_add_f32_e32 v1, v1, v6
.LBB129_6:
	s_or_b64 exec, exec, s[0:1]
	s_load_dwordx2 s[0:1], s[4:5], 0x10
	v_add_u32_e32 v6, 8, v4
	v_cmp_le_u32_e32 vcc, v6, v5
	; wave barrier
	ds_write_b32 v0, v1
	; wave barrier
	s_and_saveexec_b64 s[2:3], vcc
	s_cbranch_execz .LBB129_8
; %bb.7:
	ds_read_b32 v6, v0 offset:32
	s_waitcnt lgkmcnt(0)
	v_add_f32_e32 v1, v1, v6
.LBB129_8:
	s_or_b64 exec, exec, s[2:3]
	v_add_u32_e32 v6, 16, v4
	v_cmp_le_u32_e32 vcc, v6, v5
	; wave barrier
	ds_write_b32 v0, v1
	; wave barrier
	s_and_saveexec_b64 s[2:3], vcc
	s_cbranch_execz .LBB129_10
; %bb.9:
	ds_read_b32 v6, v0 offset:64
	s_waitcnt lgkmcnt(0)
	v_add_f32_e32 v1, v1, v6
.LBB129_10:
	s_or_b64 exec, exec, s[2:3]
	;; [unrolled: 13-line block ×3, first 2 shown]
	s_waitcnt lgkmcnt(0)
	v_mov_b32_e32 v0, s1
	v_add_co_u32_e32 v2, vcc, s0, v2
	v_addc_co_u32_e32 v3, vcc, v0, v3, vcc
	; wave barrier
	global_store_dword v[2:3], v1, off
	s_endpgm
	.section	.rodata,"a",@progbits
	.p2align	6, 0x0
	.amdhsa_kernel _Z33head_segmented_warp_reduce_kernelIfhLj61ELj61EENSt9enable_ifIXsr10test_utilsE35device_test_enabled_for_warp_size_vIXT2_EEEvE4typeEPT_PT0_S4_
		.amdhsa_group_segment_fixed_size 244
		.amdhsa_private_segment_fixed_size 0
		.amdhsa_kernarg_size 280
		.amdhsa_user_sgpr_count 6
		.amdhsa_user_sgpr_private_segment_buffer 1
		.amdhsa_user_sgpr_dispatch_ptr 0
		.amdhsa_user_sgpr_queue_ptr 0
		.amdhsa_user_sgpr_kernarg_segment_ptr 1
		.amdhsa_user_sgpr_dispatch_id 0
		.amdhsa_user_sgpr_flat_scratch_init 0
		.amdhsa_user_sgpr_kernarg_preload_length 0
		.amdhsa_user_sgpr_kernarg_preload_offset 0
		.amdhsa_user_sgpr_private_segment_size 0
		.amdhsa_uses_dynamic_stack 0
		.amdhsa_system_sgpr_private_segment_wavefront_offset 0
		.amdhsa_system_sgpr_workgroup_id_x 1
		.amdhsa_system_sgpr_workgroup_id_y 0
		.amdhsa_system_sgpr_workgroup_id_z 0
		.amdhsa_system_sgpr_workgroup_info 0
		.amdhsa_system_vgpr_workitem_id 0
		.amdhsa_next_free_vgpr 10
		.amdhsa_next_free_sgpr 8
		.amdhsa_accum_offset 12
		.amdhsa_reserve_vcc 1
		.amdhsa_reserve_flat_scratch 0
		.amdhsa_float_round_mode_32 0
		.amdhsa_float_round_mode_16_64 0
		.amdhsa_float_denorm_mode_32 3
		.amdhsa_float_denorm_mode_16_64 3
		.amdhsa_dx10_clamp 1
		.amdhsa_ieee_mode 1
		.amdhsa_fp16_overflow 0
		.amdhsa_tg_split 0
		.amdhsa_exception_fp_ieee_invalid_op 0
		.amdhsa_exception_fp_denorm_src 0
		.amdhsa_exception_fp_ieee_div_zero 0
		.amdhsa_exception_fp_ieee_overflow 0
		.amdhsa_exception_fp_ieee_underflow 0
		.amdhsa_exception_fp_ieee_inexact 0
		.amdhsa_exception_int_div_zero 0
	.end_amdhsa_kernel
	.section	.text._Z33head_segmented_warp_reduce_kernelIfhLj61ELj61EENSt9enable_ifIXsr10test_utilsE35device_test_enabled_for_warp_size_vIXT2_EEEvE4typeEPT_PT0_S4_,"axG",@progbits,_Z33head_segmented_warp_reduce_kernelIfhLj61ELj61EENSt9enable_ifIXsr10test_utilsE35device_test_enabled_for_warp_size_vIXT2_EEEvE4typeEPT_PT0_S4_,comdat
.Lfunc_end129:
	.size	_Z33head_segmented_warp_reduce_kernelIfhLj61ELj61EENSt9enable_ifIXsr10test_utilsE35device_test_enabled_for_warp_size_vIXT2_EEEvE4typeEPT_PT0_S4_, .Lfunc_end129-_Z33head_segmented_warp_reduce_kernelIfhLj61ELj61EENSt9enable_ifIXsr10test_utilsE35device_test_enabled_for_warp_size_vIXT2_EEEvE4typeEPT_PT0_S4_
                                        ; -- End function
	.section	.AMDGPU.csdata,"",@progbits
; Kernel info:
; codeLenInByte = 504
; NumSgprs: 12
; NumVgprs: 10
; NumAgprs: 0
; TotalNumVgprs: 10
; ScratchSize: 0
; MemoryBound: 0
; FloatMode: 240
; IeeeMode: 1
; LDSByteSize: 244 bytes/workgroup (compile time only)
; SGPRBlocks: 1
; VGPRBlocks: 1
; NumSGPRsForWavesPerEU: 12
; NumVGPRsForWavesPerEU: 10
; AccumOffset: 12
; Occupancy: 8
; WaveLimiterHint : 0
; COMPUTE_PGM_RSRC2:SCRATCH_EN: 0
; COMPUTE_PGM_RSRC2:USER_SGPR: 6
; COMPUTE_PGM_RSRC2:TRAP_HANDLER: 0
; COMPUTE_PGM_RSRC2:TGID_X_EN: 1
; COMPUTE_PGM_RSRC2:TGID_Y_EN: 0
; COMPUTE_PGM_RSRC2:TGID_Z_EN: 0
; COMPUTE_PGM_RSRC2:TIDIG_COMP_CNT: 0
; COMPUTE_PGM_RSRC3_GFX90A:ACCUM_OFFSET: 2
; COMPUTE_PGM_RSRC3_GFX90A:TG_SPLIT: 0
	.section	.text._Z33head_segmented_warp_reduce_kernelIfhLj1ELj37EENSt9enable_ifIXsr10test_utilsE35device_test_enabled_for_warp_size_vIXT2_EEEvE4typeEPT_PT0_S4_,"axG",@progbits,_Z33head_segmented_warp_reduce_kernelIfhLj1ELj37EENSt9enable_ifIXsr10test_utilsE35device_test_enabled_for_warp_size_vIXT2_EEEvE4typeEPT_PT0_S4_,comdat
	.protected	_Z33head_segmented_warp_reduce_kernelIfhLj1ELj37EENSt9enable_ifIXsr10test_utilsE35device_test_enabled_for_warp_size_vIXT2_EEEvE4typeEPT_PT0_S4_ ; -- Begin function _Z33head_segmented_warp_reduce_kernelIfhLj1ELj37EENSt9enable_ifIXsr10test_utilsE35device_test_enabled_for_warp_size_vIXT2_EEEvE4typeEPT_PT0_S4_
	.globl	_Z33head_segmented_warp_reduce_kernelIfhLj1ELj37EENSt9enable_ifIXsr10test_utilsE35device_test_enabled_for_warp_size_vIXT2_EEEvE4typeEPT_PT0_S4_
	.p2align	8
	.type	_Z33head_segmented_warp_reduce_kernelIfhLj1ELj37EENSt9enable_ifIXsr10test_utilsE35device_test_enabled_for_warp_size_vIXT2_EEEvE4typeEPT_PT0_S4_,@function
_Z33head_segmented_warp_reduce_kernelIfhLj1ELj37EENSt9enable_ifIXsr10test_utilsE35device_test_enabled_for_warp_size_vIXT2_EEEvE4typeEPT_PT0_S4_: ; @_Z33head_segmented_warp_reduce_kernelIfhLj1ELj37EENSt9enable_ifIXsr10test_utilsE35device_test_enabled_for_warp_size_vIXT2_EEEvE4typeEPT_PT0_S4_
; %bb.0:
	s_load_dword s0, s[4:5], 0x24
	s_load_dwordx4 s[8:11], s[4:5], 0x0
	s_mov_b32 s1, 0
	s_mov_b32 s2, 0x6eb3e46
	s_waitcnt lgkmcnt(0)
	s_and_b32 s0, s0, 0xffff
	s_mul_i32 s0, s6, s0
	v_mov_b32_e32 v0, s0
	global_load_ubyte v1, v0, s[10:11]
	v_mbcnt_lo_u32_b32 v0, -1, 0
	v_mbcnt_hi_u32_b32 v0, -1, v0
	s_lshl_b64 s[0:1], s[0:1], 2
	v_mul_hi_u32 v4, v0, s2
	s_add_u32 s2, s8, s0
	v_lshlrev_b64 v[2:3], v0, -1
	s_addc_u32 s3, s9, s1
	v_mul_u32_u24_e32 v4, 37, v4
	s_load_dword s2, s[2:3], 0x0
	v_sub_u32_e32 v5, v0, v4
	v_readfirstlane_b32 s6, v5
	v_lshlrev_b32_e32 v0, 2, v5
	s_waitcnt lgkmcnt(0)
	v_mov_b32_e32 v6, s2
	ds_write_b32 v0, v6
	; wave barrier
	s_waitcnt vmcnt(0)
	v_cmp_ne_u16_e32 vcc, 0, v1
	s_lshr_b64 s[8:9], vcc, 1
	v_and_b32_e32 v3, s9, v3
	v_and_b32_e32 v2, s8, v2
	v_lshrrev_b64 v[2:3], v4, v[2:3]
	v_or_b32_e32 v1, 16, v3
	v_ffbl_b32_e32 v1, v1
	v_ffbl_b32_e32 v2, v2
	v_add_u32_e32 v1, 32, v1
	v_min_u32_e32 v1, v2, v1
	v_cmp_ge_u32_e32 vcc, v5, v1
	v_readfirstlane_b32 s7, v1
	s_and_b64 s[8:9], vcc, exec
	s_cbranch_scc1 .LBB130_2
; %bb.1:
	ds_read_b32 v1, v0 offset:4
	s_waitcnt lgkmcnt(0)
	v_add_f32_e32 v1, s2, v1
	s_branch .LBB130_3
.LBB130_2:
	v_mov_b32_e32 v1, s2
.LBB130_3:
	s_add_i32 s2, s6, 2
	s_cmp_gt_u32 s2, s7
	; wave barrier
	ds_write_b32 v0, v1
	; wave barrier
	s_cbranch_scc1 .LBB130_5
; %bb.4:
	ds_read_b32 v2, v0 offset:8
	s_waitcnt lgkmcnt(0)
	v_add_f32_e32 v1, v1, v2
.LBB130_5:
	s_add_i32 s2, s6, 4
	s_cmp_gt_u32 s2, s7
	; wave barrier
	ds_write_b32 v0, v1
	; wave barrier
	s_cbranch_scc1 .LBB130_7
; %bb.6:
	ds_read_b32 v2, v0 offset:16
	s_waitcnt lgkmcnt(0)
	v_add_f32_e32 v1, v1, v2
.LBB130_7:
	s_load_dwordx2 s[2:3], s[4:5], 0x10
	s_add_i32 s4, s6, 8
	s_cmp_gt_u32 s4, s7
	; wave barrier
	ds_write_b32 v0, v1
	; wave barrier
	s_cbranch_scc1 .LBB130_9
; %bb.8:
	ds_read_b32 v2, v0 offset:32
	s_waitcnt lgkmcnt(0)
	v_add_f32_e32 v1, v1, v2
.LBB130_9:
	s_add_i32 s4, s6, 16
	s_cmp_gt_u32 s4, s7
	; wave barrier
	ds_write_b32 v0, v1
	; wave barrier
	s_cbranch_scc1 .LBB130_11
; %bb.10:
	ds_read_b32 v2, v0 offset:64
	s_waitcnt lgkmcnt(0)
	v_add_f32_e32 v1, v1, v2
.LBB130_11:
	;; [unrolled: 11-line block ×3, first 2 shown]
	s_waitcnt lgkmcnt(0)
	s_add_u32 s0, s2, s0
	s_addc_u32 s1, s3, s1
	v_mov_b32_e32 v0, 0
	; wave barrier
	global_store_dword v0, v1, s[0:1]
	s_endpgm
	.section	.rodata,"a",@progbits
	.p2align	6, 0x0
	.amdhsa_kernel _Z33head_segmented_warp_reduce_kernelIfhLj1ELj37EENSt9enable_ifIXsr10test_utilsE35device_test_enabled_for_warp_size_vIXT2_EEEvE4typeEPT_PT0_S4_
		.amdhsa_group_segment_fixed_size 148
		.amdhsa_private_segment_fixed_size 0
		.amdhsa_kernarg_size 280
		.amdhsa_user_sgpr_count 6
		.amdhsa_user_sgpr_private_segment_buffer 1
		.amdhsa_user_sgpr_dispatch_ptr 0
		.amdhsa_user_sgpr_queue_ptr 0
		.amdhsa_user_sgpr_kernarg_segment_ptr 1
		.amdhsa_user_sgpr_dispatch_id 0
		.amdhsa_user_sgpr_flat_scratch_init 0
		.amdhsa_user_sgpr_kernarg_preload_length 0
		.amdhsa_user_sgpr_kernarg_preload_offset 0
		.amdhsa_user_sgpr_private_segment_size 0
		.amdhsa_uses_dynamic_stack 0
		.amdhsa_system_sgpr_private_segment_wavefront_offset 0
		.amdhsa_system_sgpr_workgroup_id_x 1
		.amdhsa_system_sgpr_workgroup_id_y 0
		.amdhsa_system_sgpr_workgroup_id_z 0
		.amdhsa_system_sgpr_workgroup_info 0
		.amdhsa_system_vgpr_workitem_id 0
		.amdhsa_next_free_vgpr 7
		.amdhsa_next_free_sgpr 12
		.amdhsa_accum_offset 8
		.amdhsa_reserve_vcc 1
		.amdhsa_reserve_flat_scratch 0
		.amdhsa_float_round_mode_32 0
		.amdhsa_float_round_mode_16_64 0
		.amdhsa_float_denorm_mode_32 3
		.amdhsa_float_denorm_mode_16_64 3
		.amdhsa_dx10_clamp 1
		.amdhsa_ieee_mode 1
		.amdhsa_fp16_overflow 0
		.amdhsa_tg_split 0
		.amdhsa_exception_fp_ieee_invalid_op 0
		.amdhsa_exception_fp_denorm_src 0
		.amdhsa_exception_fp_ieee_div_zero 0
		.amdhsa_exception_fp_ieee_overflow 0
		.amdhsa_exception_fp_ieee_underflow 0
		.amdhsa_exception_fp_ieee_inexact 0
		.amdhsa_exception_int_div_zero 0
	.end_amdhsa_kernel
	.section	.text._Z33head_segmented_warp_reduce_kernelIfhLj1ELj37EENSt9enable_ifIXsr10test_utilsE35device_test_enabled_for_warp_size_vIXT2_EEEvE4typeEPT_PT0_S4_,"axG",@progbits,_Z33head_segmented_warp_reduce_kernelIfhLj1ELj37EENSt9enable_ifIXsr10test_utilsE35device_test_enabled_for_warp_size_vIXT2_EEEvE4typeEPT_PT0_S4_,comdat
.Lfunc_end130:
	.size	_Z33head_segmented_warp_reduce_kernelIfhLj1ELj37EENSt9enable_ifIXsr10test_utilsE35device_test_enabled_for_warp_size_vIXT2_EEEvE4typeEPT_PT0_S4_, .Lfunc_end130-_Z33head_segmented_warp_reduce_kernelIfhLj1ELj37EENSt9enable_ifIXsr10test_utilsE35device_test_enabled_for_warp_size_vIXT2_EEEvE4typeEPT_PT0_S4_
                                        ; -- End function
	.section	.AMDGPU.csdata,"",@progbits
; Kernel info:
; codeLenInByte = 444
; NumSgprs: 16
; NumVgprs: 7
; NumAgprs: 0
; TotalNumVgprs: 7
; ScratchSize: 0
; MemoryBound: 0
; FloatMode: 240
; IeeeMode: 1
; LDSByteSize: 148 bytes/workgroup (compile time only)
; SGPRBlocks: 1
; VGPRBlocks: 0
; NumSGPRsForWavesPerEU: 16
; NumVGPRsForWavesPerEU: 7
; AccumOffset: 8
; Occupancy: 8
; WaveLimiterHint : 0
; COMPUTE_PGM_RSRC2:SCRATCH_EN: 0
; COMPUTE_PGM_RSRC2:USER_SGPR: 6
; COMPUTE_PGM_RSRC2:TRAP_HANDLER: 0
; COMPUTE_PGM_RSRC2:TGID_X_EN: 1
; COMPUTE_PGM_RSRC2:TGID_Y_EN: 0
; COMPUTE_PGM_RSRC2:TGID_Z_EN: 0
; COMPUTE_PGM_RSRC2:TIDIG_COMP_CNT: 0
; COMPUTE_PGM_RSRC3_GFX90A:ACCUM_OFFSET: 1
; COMPUTE_PGM_RSRC3_GFX90A:TG_SPLIT: 0
	.section	.text._Z33head_segmented_warp_reduce_kernelIfhLj37ELj37EENSt9enable_ifIXsr10test_utilsE35device_test_enabled_for_warp_size_vIXT2_EEEvE4typeEPT_PT0_S4_,"axG",@progbits,_Z33head_segmented_warp_reduce_kernelIfhLj37ELj37EENSt9enable_ifIXsr10test_utilsE35device_test_enabled_for_warp_size_vIXT2_EEEvE4typeEPT_PT0_S4_,comdat
	.protected	_Z33head_segmented_warp_reduce_kernelIfhLj37ELj37EENSt9enable_ifIXsr10test_utilsE35device_test_enabled_for_warp_size_vIXT2_EEEvE4typeEPT_PT0_S4_ ; -- Begin function _Z33head_segmented_warp_reduce_kernelIfhLj37ELj37EENSt9enable_ifIXsr10test_utilsE35device_test_enabled_for_warp_size_vIXT2_EEEvE4typeEPT_PT0_S4_
	.globl	_Z33head_segmented_warp_reduce_kernelIfhLj37ELj37EENSt9enable_ifIXsr10test_utilsE35device_test_enabled_for_warp_size_vIXT2_EEEvE4typeEPT_PT0_S4_
	.p2align	8
	.type	_Z33head_segmented_warp_reduce_kernelIfhLj37ELj37EENSt9enable_ifIXsr10test_utilsE35device_test_enabled_for_warp_size_vIXT2_EEEvE4typeEPT_PT0_S4_,@function
_Z33head_segmented_warp_reduce_kernelIfhLj37ELj37EENSt9enable_ifIXsr10test_utilsE35device_test_enabled_for_warp_size_vIXT2_EEEvE4typeEPT_PT0_S4_: ; @_Z33head_segmented_warp_reduce_kernelIfhLj37ELj37EENSt9enable_ifIXsr10test_utilsE35device_test_enabled_for_warp_size_vIXT2_EEEvE4typeEPT_PT0_S4_
; %bb.0:
	s_load_dword s7, s[4:5], 0x24
	s_load_dwordx4 s[0:3], s[4:5], 0x0
	v_mov_b32_e32 v5, 0
	s_waitcnt lgkmcnt(0)
	s_and_b32 s7, s7, 0xffff
	s_mul_i32 s6, s6, s7
	v_add_u32_e32 v4, s6, v0
	global_load_ubyte v8, v4, s[2:3]
	v_lshlrev_b64 v[2:3], 2, v[4:5]
	v_mov_b32_e32 v1, s1
	v_add_co_u32_e32 v4, vcc, s0, v2
	v_addc_co_u32_e32 v5, vcc, v1, v3, vcc
	global_load_dword v1, v[4:5], off
	v_mbcnt_lo_u32_b32 v4, -1, 0
	s_mov_b32 s0, 0x6eb3e46
	v_mbcnt_hi_u32_b32 v4, -1, v4
	v_mul_hi_u32 v5, v4, s0
	v_mul_u32_u24_e32 v5, 37, v5
	v_mul_u32_u24_e32 v0, 0x6ec, v0
	v_lshlrev_b64 v[6:7], v4, -1
	v_sub_u32_e32 v4, v4, v5
	s_movk_i32 s1, 0x94
	v_lshrrev_b32_e32 v0, 16, v0
	v_lshlrev_b32_e32 v9, 2, v4
	v_mad_u32_u24 v0, v0, s1, v9
	s_waitcnt vmcnt(1)
	v_cmp_ne_u16_e32 vcc, 0, v8
	s_lshr_b64 s[0:1], vcc, 1
	v_and_b32_e32 v7, s1, v7
	v_and_b32_e32 v6, s0, v6
	v_lshrrev_b64 v[6:7], v5, v[6:7]
	v_or_b32_e32 v5, 16, v7
	v_ffbl_b32_e32 v5, v5
	v_ffbl_b32_e32 v6, v6
	v_add_u32_e32 v5, 32, v5
	v_min_u32_e32 v5, v6, v5
	v_cmp_lt_u32_e32 vcc, v4, v5
	s_waitcnt vmcnt(0)
	ds_write_b32 v0, v1
	; wave barrier
	s_and_saveexec_b64 s[0:1], vcc
	s_cbranch_execz .LBB131_2
; %bb.1:
	ds_read_b32 v6, v0 offset:4
	s_waitcnt lgkmcnt(0)
	v_add_f32_e32 v1, v1, v6
.LBB131_2:
	s_or_b64 exec, exec, s[0:1]
	v_add_u32_e32 v6, 2, v4
	v_cmp_le_u32_e32 vcc, v6, v5
	; wave barrier
	ds_write_b32 v0, v1
	; wave barrier
	s_and_saveexec_b64 s[0:1], vcc
	s_cbranch_execz .LBB131_4
; %bb.3:
	ds_read_b32 v6, v0 offset:8
	s_waitcnt lgkmcnt(0)
	v_add_f32_e32 v1, v1, v6
.LBB131_4:
	s_or_b64 exec, exec, s[0:1]
	v_add_u32_e32 v6, 4, v4
	v_cmp_le_u32_e32 vcc, v6, v5
	; wave barrier
	ds_write_b32 v0, v1
	; wave barrier
	s_and_saveexec_b64 s[0:1], vcc
	s_cbranch_execz .LBB131_6
; %bb.5:
	ds_read_b32 v6, v0 offset:16
	s_waitcnt lgkmcnt(0)
	v_add_f32_e32 v1, v1, v6
.LBB131_6:
	s_or_b64 exec, exec, s[0:1]
	s_load_dwordx2 s[0:1], s[4:5], 0x10
	v_add_u32_e32 v6, 8, v4
	v_cmp_le_u32_e32 vcc, v6, v5
	; wave barrier
	ds_write_b32 v0, v1
	; wave barrier
	s_and_saveexec_b64 s[2:3], vcc
	s_cbranch_execz .LBB131_8
; %bb.7:
	ds_read_b32 v6, v0 offset:32
	s_waitcnt lgkmcnt(0)
	v_add_f32_e32 v1, v1, v6
.LBB131_8:
	s_or_b64 exec, exec, s[2:3]
	v_add_u32_e32 v6, 16, v4
	v_cmp_le_u32_e32 vcc, v6, v5
	; wave barrier
	ds_write_b32 v0, v1
	; wave barrier
	s_and_saveexec_b64 s[2:3], vcc
	s_cbranch_execz .LBB131_10
; %bb.9:
	ds_read_b32 v6, v0 offset:64
	s_waitcnt lgkmcnt(0)
	v_add_f32_e32 v1, v1, v6
.LBB131_10:
	s_or_b64 exec, exec, s[2:3]
	;; [unrolled: 13-line block ×3, first 2 shown]
	s_waitcnt lgkmcnt(0)
	v_mov_b32_e32 v0, s1
	v_add_co_u32_e32 v2, vcc, s0, v2
	v_addc_co_u32_e32 v3, vcc, v0, v3, vcc
	; wave barrier
	global_store_dword v[2:3], v1, off
	s_endpgm
	.section	.rodata,"a",@progbits
	.p2align	6, 0x0
	.amdhsa_kernel _Z33head_segmented_warp_reduce_kernelIfhLj37ELj37EENSt9enable_ifIXsr10test_utilsE35device_test_enabled_for_warp_size_vIXT2_EEEvE4typeEPT_PT0_S4_
		.amdhsa_group_segment_fixed_size 148
		.amdhsa_private_segment_fixed_size 0
		.amdhsa_kernarg_size 280
		.amdhsa_user_sgpr_count 6
		.amdhsa_user_sgpr_private_segment_buffer 1
		.amdhsa_user_sgpr_dispatch_ptr 0
		.amdhsa_user_sgpr_queue_ptr 0
		.amdhsa_user_sgpr_kernarg_segment_ptr 1
		.amdhsa_user_sgpr_dispatch_id 0
		.amdhsa_user_sgpr_flat_scratch_init 0
		.amdhsa_user_sgpr_kernarg_preload_length 0
		.amdhsa_user_sgpr_kernarg_preload_offset 0
		.amdhsa_user_sgpr_private_segment_size 0
		.amdhsa_uses_dynamic_stack 0
		.amdhsa_system_sgpr_private_segment_wavefront_offset 0
		.amdhsa_system_sgpr_workgroup_id_x 1
		.amdhsa_system_sgpr_workgroup_id_y 0
		.amdhsa_system_sgpr_workgroup_id_z 0
		.amdhsa_system_sgpr_workgroup_info 0
		.amdhsa_system_vgpr_workitem_id 0
		.amdhsa_next_free_vgpr 10
		.amdhsa_next_free_sgpr 8
		.amdhsa_accum_offset 12
		.amdhsa_reserve_vcc 1
		.amdhsa_reserve_flat_scratch 0
		.amdhsa_float_round_mode_32 0
		.amdhsa_float_round_mode_16_64 0
		.amdhsa_float_denorm_mode_32 3
		.amdhsa_float_denorm_mode_16_64 3
		.amdhsa_dx10_clamp 1
		.amdhsa_ieee_mode 1
		.amdhsa_fp16_overflow 0
		.amdhsa_tg_split 0
		.amdhsa_exception_fp_ieee_invalid_op 0
		.amdhsa_exception_fp_denorm_src 0
		.amdhsa_exception_fp_ieee_div_zero 0
		.amdhsa_exception_fp_ieee_overflow 0
		.amdhsa_exception_fp_ieee_underflow 0
		.amdhsa_exception_fp_ieee_inexact 0
		.amdhsa_exception_int_div_zero 0
	.end_amdhsa_kernel
	.section	.text._Z33head_segmented_warp_reduce_kernelIfhLj37ELj37EENSt9enable_ifIXsr10test_utilsE35device_test_enabled_for_warp_size_vIXT2_EEEvE4typeEPT_PT0_S4_,"axG",@progbits,_Z33head_segmented_warp_reduce_kernelIfhLj37ELj37EENSt9enable_ifIXsr10test_utilsE35device_test_enabled_for_warp_size_vIXT2_EEEvE4typeEPT_PT0_S4_,comdat
.Lfunc_end131:
	.size	_Z33head_segmented_warp_reduce_kernelIfhLj37ELj37EENSt9enable_ifIXsr10test_utilsE35device_test_enabled_for_warp_size_vIXT2_EEEvE4typeEPT_PT0_S4_, .Lfunc_end131-_Z33head_segmented_warp_reduce_kernelIfhLj37ELj37EENSt9enable_ifIXsr10test_utilsE35device_test_enabled_for_warp_size_vIXT2_EEEvE4typeEPT_PT0_S4_
                                        ; -- End function
	.section	.AMDGPU.csdata,"",@progbits
; Kernel info:
; codeLenInByte = 500
; NumSgprs: 12
; NumVgprs: 10
; NumAgprs: 0
; TotalNumVgprs: 10
; ScratchSize: 0
; MemoryBound: 0
; FloatMode: 240
; IeeeMode: 1
; LDSByteSize: 148 bytes/workgroup (compile time only)
; SGPRBlocks: 1
; VGPRBlocks: 1
; NumSGPRsForWavesPerEU: 12
; NumVGPRsForWavesPerEU: 10
; AccumOffset: 12
; Occupancy: 8
; WaveLimiterHint : 0
; COMPUTE_PGM_RSRC2:SCRATCH_EN: 0
; COMPUTE_PGM_RSRC2:USER_SGPR: 6
; COMPUTE_PGM_RSRC2:TRAP_HANDLER: 0
; COMPUTE_PGM_RSRC2:TGID_X_EN: 1
; COMPUTE_PGM_RSRC2:TGID_Y_EN: 0
; COMPUTE_PGM_RSRC2:TGID_Z_EN: 0
; COMPUTE_PGM_RSRC2:TIDIG_COMP_CNT: 0
; COMPUTE_PGM_RSRC3_GFX90A:ACCUM_OFFSET: 2
; COMPUTE_PGM_RSRC3_GFX90A:TG_SPLIT: 0
	.section	.text._Z33head_segmented_warp_reduce_kernelIfhLj30ELj15EENSt9enable_ifIXsr10test_utilsE35device_test_enabled_for_warp_size_vIXT2_EEEvE4typeEPT_PT0_S4_,"axG",@progbits,_Z33head_segmented_warp_reduce_kernelIfhLj30ELj15EENSt9enable_ifIXsr10test_utilsE35device_test_enabled_for_warp_size_vIXT2_EEEvE4typeEPT_PT0_S4_,comdat
	.protected	_Z33head_segmented_warp_reduce_kernelIfhLj30ELj15EENSt9enable_ifIXsr10test_utilsE35device_test_enabled_for_warp_size_vIXT2_EEEvE4typeEPT_PT0_S4_ ; -- Begin function _Z33head_segmented_warp_reduce_kernelIfhLj30ELj15EENSt9enable_ifIXsr10test_utilsE35device_test_enabled_for_warp_size_vIXT2_EEEvE4typeEPT_PT0_S4_
	.globl	_Z33head_segmented_warp_reduce_kernelIfhLj30ELj15EENSt9enable_ifIXsr10test_utilsE35device_test_enabled_for_warp_size_vIXT2_EEEvE4typeEPT_PT0_S4_
	.p2align	8
	.type	_Z33head_segmented_warp_reduce_kernelIfhLj30ELj15EENSt9enable_ifIXsr10test_utilsE35device_test_enabled_for_warp_size_vIXT2_EEEvE4typeEPT_PT0_S4_,@function
_Z33head_segmented_warp_reduce_kernelIfhLj30ELj15EENSt9enable_ifIXsr10test_utilsE35device_test_enabled_for_warp_size_vIXT2_EEEvE4typeEPT_PT0_S4_: ; @_Z33head_segmented_warp_reduce_kernelIfhLj30ELj15EENSt9enable_ifIXsr10test_utilsE35device_test_enabled_for_warp_size_vIXT2_EEEvE4typeEPT_PT0_S4_
; %bb.0:
	s_load_dword s7, s[4:5], 0x24
	s_load_dwordx4 s[0:3], s[4:5], 0x0
	v_mov_b32_e32 v5, 0
	s_waitcnt lgkmcnt(0)
	s_and_b32 s7, s7, 0xffff
	s_mul_i32 s6, s6, s7
	v_add_u32_e32 v4, s6, v0
	global_load_ubyte v8, v4, s[2:3]
	v_lshlrev_b64 v[2:3], 2, v[4:5]
	v_mov_b32_e32 v1, s1
	v_add_co_u32_e32 v4, vcc, s0, v2
	v_addc_co_u32_e32 v5, vcc, v1, v3, vcc
	global_load_dword v1, v[4:5], off
	v_mbcnt_lo_u32_b32 v4, -1, 0
	s_mov_b32 s0, 0x11111112
	v_mul_u32_u24_e32 v0, 0x1112, v0
	v_mbcnt_hi_u32_b32 v4, -1, v4
	v_lshrrev_b32_e32 v5, 16, v0
	v_mul_hi_u32 v0, v4, s0
	v_lshlrev_b64 v[6:7], v4, -1
	v_mul_u32_u24_e32 v9, 15, v0
	v_sub_u32_e32 v0, v4, v9
	v_lshlrev_b32_e32 v4, 2, v0
	v_mad_u32_u24 v4, v5, 60, v4
	s_waitcnt vmcnt(1)
	v_cmp_ne_u16_e32 vcc, 0, v8
	s_lshr_b64 s[0:1], vcc, 1
	v_and_b32_e32 v7, s1, v7
	v_and_b32_e32 v6, s0, v6
	v_lshrrev_b64 v[6:7], v9, v[6:7]
	v_or_b32_e32 v5, 0x4000, v6
	v_ffbl_b32_e32 v6, v7
	v_add_u32_e32 v6, 32, v6
	v_ffbl_b32_e32 v5, v5
	v_min_u32_e32 v5, v5, v6
	v_cmp_lt_u32_e32 vcc, v0, v5
	s_waitcnt vmcnt(0)
	ds_write_b32 v4, v1
	; wave barrier
	s_and_saveexec_b64 s[0:1], vcc
	s_cbranch_execz .LBB132_2
; %bb.1:
	ds_read_b32 v6, v4 offset:4
	s_waitcnt lgkmcnt(0)
	v_add_f32_e32 v1, v1, v6
.LBB132_2:
	s_or_b64 exec, exec, s[0:1]
	s_load_dwordx2 s[0:1], s[4:5], 0x10
	v_add_u32_e32 v6, 2, v0
	v_cmp_le_u32_e32 vcc, v6, v5
	; wave barrier
	ds_write_b32 v4, v1
	; wave barrier
	s_and_saveexec_b64 s[2:3], vcc
	s_cbranch_execz .LBB132_4
; %bb.3:
	ds_read_b32 v6, v4 offset:8
	s_waitcnt lgkmcnt(0)
	v_add_f32_e32 v1, v1, v6
.LBB132_4:
	s_or_b64 exec, exec, s[2:3]
	v_add_u32_e32 v6, 4, v0
	v_cmp_le_u32_e32 vcc, v6, v5
	; wave barrier
	ds_write_b32 v4, v1
	; wave barrier
	s_and_saveexec_b64 s[2:3], vcc
	s_cbranch_execz .LBB132_6
; %bb.5:
	ds_read_b32 v6, v4 offset:16
	s_waitcnt lgkmcnt(0)
	v_add_f32_e32 v1, v1, v6
.LBB132_6:
	s_or_b64 exec, exec, s[2:3]
	;; [unrolled: 13-line block ×3, first 2 shown]
	s_waitcnt lgkmcnt(0)
	v_mov_b32_e32 v0, s1
	v_add_co_u32_e32 v2, vcc, s0, v2
	v_addc_co_u32_e32 v3, vcc, v0, v3, vcc
	; wave barrier
	global_store_dword v[2:3], v1, off
	s_endpgm
	.section	.rodata,"a",@progbits
	.p2align	6, 0x0
	.amdhsa_kernel _Z33head_segmented_warp_reduce_kernelIfhLj30ELj15EENSt9enable_ifIXsr10test_utilsE35device_test_enabled_for_warp_size_vIXT2_EEEvE4typeEPT_PT0_S4_
		.amdhsa_group_segment_fixed_size 120
		.amdhsa_private_segment_fixed_size 0
		.amdhsa_kernarg_size 280
		.amdhsa_user_sgpr_count 6
		.amdhsa_user_sgpr_private_segment_buffer 1
		.amdhsa_user_sgpr_dispatch_ptr 0
		.amdhsa_user_sgpr_queue_ptr 0
		.amdhsa_user_sgpr_kernarg_segment_ptr 1
		.amdhsa_user_sgpr_dispatch_id 0
		.amdhsa_user_sgpr_flat_scratch_init 0
		.amdhsa_user_sgpr_kernarg_preload_length 0
		.amdhsa_user_sgpr_kernarg_preload_offset 0
		.amdhsa_user_sgpr_private_segment_size 0
		.amdhsa_uses_dynamic_stack 0
		.amdhsa_system_sgpr_private_segment_wavefront_offset 0
		.amdhsa_system_sgpr_workgroup_id_x 1
		.amdhsa_system_sgpr_workgroup_id_y 0
		.amdhsa_system_sgpr_workgroup_id_z 0
		.amdhsa_system_sgpr_workgroup_info 0
		.amdhsa_system_vgpr_workitem_id 0
		.amdhsa_next_free_vgpr 10
		.amdhsa_next_free_sgpr 8
		.amdhsa_accum_offset 12
		.amdhsa_reserve_vcc 1
		.amdhsa_reserve_flat_scratch 0
		.amdhsa_float_round_mode_32 0
		.amdhsa_float_round_mode_16_64 0
		.amdhsa_float_denorm_mode_32 3
		.amdhsa_float_denorm_mode_16_64 3
		.amdhsa_dx10_clamp 1
		.amdhsa_ieee_mode 1
		.amdhsa_fp16_overflow 0
		.amdhsa_tg_split 0
		.amdhsa_exception_fp_ieee_invalid_op 0
		.amdhsa_exception_fp_denorm_src 0
		.amdhsa_exception_fp_ieee_div_zero 0
		.amdhsa_exception_fp_ieee_overflow 0
		.amdhsa_exception_fp_ieee_underflow 0
		.amdhsa_exception_fp_ieee_inexact 0
		.amdhsa_exception_int_div_zero 0
	.end_amdhsa_kernel
	.section	.text._Z33head_segmented_warp_reduce_kernelIfhLj30ELj15EENSt9enable_ifIXsr10test_utilsE35device_test_enabled_for_warp_size_vIXT2_EEEvE4typeEPT_PT0_S4_,"axG",@progbits,_Z33head_segmented_warp_reduce_kernelIfhLj30ELj15EENSt9enable_ifIXsr10test_utilsE35device_test_enabled_for_warp_size_vIXT2_EEEvE4typeEPT_PT0_S4_,comdat
.Lfunc_end132:
	.size	_Z33head_segmented_warp_reduce_kernelIfhLj30ELj15EENSt9enable_ifIXsr10test_utilsE35device_test_enabled_for_warp_size_vIXT2_EEEvE4typeEPT_PT0_S4_, .Lfunc_end132-_Z33head_segmented_warp_reduce_kernelIfhLj30ELj15EENSt9enable_ifIXsr10test_utilsE35device_test_enabled_for_warp_size_vIXT2_EEEvE4typeEPT_PT0_S4_
                                        ; -- End function
	.section	.AMDGPU.csdata,"",@progbits
; Kernel info:
; codeLenInByte = 412
; NumSgprs: 12
; NumVgprs: 10
; NumAgprs: 0
; TotalNumVgprs: 10
; ScratchSize: 0
; MemoryBound: 0
; FloatMode: 240
; IeeeMode: 1
; LDSByteSize: 120 bytes/workgroup (compile time only)
; SGPRBlocks: 1
; VGPRBlocks: 1
; NumSGPRsForWavesPerEU: 12
; NumVGPRsForWavesPerEU: 10
; AccumOffset: 12
; Occupancy: 8
; WaveLimiterHint : 0
; COMPUTE_PGM_RSRC2:SCRATCH_EN: 0
; COMPUTE_PGM_RSRC2:USER_SGPR: 6
; COMPUTE_PGM_RSRC2:TRAP_HANDLER: 0
; COMPUTE_PGM_RSRC2:TGID_X_EN: 1
; COMPUTE_PGM_RSRC2:TGID_Y_EN: 0
; COMPUTE_PGM_RSRC2:TGID_Z_EN: 0
; COMPUTE_PGM_RSRC2:TIDIG_COMP_CNT: 0
; COMPUTE_PGM_RSRC3_GFX90A:ACCUM_OFFSET: 2
; COMPUTE_PGM_RSRC3_GFX90A:TG_SPLIT: 0
	.section	.text._Z33head_segmented_warp_reduce_kernelIfhLj60ELj15EENSt9enable_ifIXsr10test_utilsE35device_test_enabled_for_warp_size_vIXT2_EEEvE4typeEPT_PT0_S4_,"axG",@progbits,_Z33head_segmented_warp_reduce_kernelIfhLj60ELj15EENSt9enable_ifIXsr10test_utilsE35device_test_enabled_for_warp_size_vIXT2_EEEvE4typeEPT_PT0_S4_,comdat
	.protected	_Z33head_segmented_warp_reduce_kernelIfhLj60ELj15EENSt9enable_ifIXsr10test_utilsE35device_test_enabled_for_warp_size_vIXT2_EEEvE4typeEPT_PT0_S4_ ; -- Begin function _Z33head_segmented_warp_reduce_kernelIfhLj60ELj15EENSt9enable_ifIXsr10test_utilsE35device_test_enabled_for_warp_size_vIXT2_EEEvE4typeEPT_PT0_S4_
	.globl	_Z33head_segmented_warp_reduce_kernelIfhLj60ELj15EENSt9enable_ifIXsr10test_utilsE35device_test_enabled_for_warp_size_vIXT2_EEEvE4typeEPT_PT0_S4_
	.p2align	8
	.type	_Z33head_segmented_warp_reduce_kernelIfhLj60ELj15EENSt9enable_ifIXsr10test_utilsE35device_test_enabled_for_warp_size_vIXT2_EEEvE4typeEPT_PT0_S4_,@function
_Z33head_segmented_warp_reduce_kernelIfhLj60ELj15EENSt9enable_ifIXsr10test_utilsE35device_test_enabled_for_warp_size_vIXT2_EEEvE4typeEPT_PT0_S4_: ; @_Z33head_segmented_warp_reduce_kernelIfhLj60ELj15EENSt9enable_ifIXsr10test_utilsE35device_test_enabled_for_warp_size_vIXT2_EEEvE4typeEPT_PT0_S4_
; %bb.0:
	s_load_dword s7, s[4:5], 0x24
	s_load_dwordx4 s[0:3], s[4:5], 0x0
	v_mov_b32_e32 v5, 0
	s_waitcnt lgkmcnt(0)
	s_and_b32 s7, s7, 0xffff
	s_mul_i32 s6, s6, s7
	v_add_u32_e32 v4, s6, v0
	global_load_ubyte v8, v4, s[2:3]
	v_lshlrev_b64 v[2:3], 2, v[4:5]
	v_mov_b32_e32 v1, s1
	v_add_co_u32_e32 v4, vcc, s0, v2
	v_addc_co_u32_e32 v5, vcc, v1, v3, vcc
	global_load_dword v1, v[4:5], off
	v_mbcnt_lo_u32_b32 v4, -1, 0
	s_mov_b32 s0, 0x11111112
	v_mul_u32_u24_e32 v0, 0x1112, v0
	v_mbcnt_hi_u32_b32 v4, -1, v4
	v_lshrrev_b32_e32 v5, 16, v0
	v_mul_hi_u32 v0, v4, s0
	v_lshlrev_b64 v[6:7], v4, -1
	v_mul_u32_u24_e32 v9, 15, v0
	v_sub_u32_e32 v0, v4, v9
	v_lshlrev_b32_e32 v4, 2, v0
	v_mad_u32_u24 v4, v5, 60, v4
	s_waitcnt vmcnt(1)
	v_cmp_ne_u16_e32 vcc, 0, v8
	s_lshr_b64 s[0:1], vcc, 1
	v_and_b32_e32 v7, s1, v7
	v_and_b32_e32 v6, s0, v6
	v_lshrrev_b64 v[6:7], v9, v[6:7]
	v_or_b32_e32 v5, 0x4000, v6
	v_ffbl_b32_e32 v6, v7
	v_add_u32_e32 v6, 32, v6
	v_ffbl_b32_e32 v5, v5
	v_min_u32_e32 v5, v5, v6
	v_cmp_lt_u32_e32 vcc, v0, v5
	s_waitcnt vmcnt(0)
	ds_write_b32 v4, v1
	; wave barrier
	s_and_saveexec_b64 s[0:1], vcc
	s_cbranch_execz .LBB133_2
; %bb.1:
	ds_read_b32 v6, v4 offset:4
	s_waitcnt lgkmcnt(0)
	v_add_f32_e32 v1, v1, v6
.LBB133_2:
	s_or_b64 exec, exec, s[0:1]
	s_load_dwordx2 s[0:1], s[4:5], 0x10
	v_add_u32_e32 v6, 2, v0
	v_cmp_le_u32_e32 vcc, v6, v5
	; wave barrier
	ds_write_b32 v4, v1
	; wave barrier
	s_and_saveexec_b64 s[2:3], vcc
	s_cbranch_execz .LBB133_4
; %bb.3:
	ds_read_b32 v6, v4 offset:8
	s_waitcnt lgkmcnt(0)
	v_add_f32_e32 v1, v1, v6
.LBB133_4:
	s_or_b64 exec, exec, s[2:3]
	v_add_u32_e32 v6, 4, v0
	v_cmp_le_u32_e32 vcc, v6, v5
	; wave barrier
	ds_write_b32 v4, v1
	; wave barrier
	s_and_saveexec_b64 s[2:3], vcc
	s_cbranch_execz .LBB133_6
; %bb.5:
	ds_read_b32 v6, v4 offset:16
	s_waitcnt lgkmcnt(0)
	v_add_f32_e32 v1, v1, v6
.LBB133_6:
	s_or_b64 exec, exec, s[2:3]
	;; [unrolled: 13-line block ×3, first 2 shown]
	s_waitcnt lgkmcnt(0)
	v_mov_b32_e32 v0, s1
	v_add_co_u32_e32 v2, vcc, s0, v2
	v_addc_co_u32_e32 v3, vcc, v0, v3, vcc
	; wave barrier
	global_store_dword v[2:3], v1, off
	s_endpgm
	.section	.rodata,"a",@progbits
	.p2align	6, 0x0
	.amdhsa_kernel _Z33head_segmented_warp_reduce_kernelIfhLj60ELj15EENSt9enable_ifIXsr10test_utilsE35device_test_enabled_for_warp_size_vIXT2_EEEvE4typeEPT_PT0_S4_
		.amdhsa_group_segment_fixed_size 240
		.amdhsa_private_segment_fixed_size 0
		.amdhsa_kernarg_size 280
		.amdhsa_user_sgpr_count 6
		.amdhsa_user_sgpr_private_segment_buffer 1
		.amdhsa_user_sgpr_dispatch_ptr 0
		.amdhsa_user_sgpr_queue_ptr 0
		.amdhsa_user_sgpr_kernarg_segment_ptr 1
		.amdhsa_user_sgpr_dispatch_id 0
		.amdhsa_user_sgpr_flat_scratch_init 0
		.amdhsa_user_sgpr_kernarg_preload_length 0
		.amdhsa_user_sgpr_kernarg_preload_offset 0
		.amdhsa_user_sgpr_private_segment_size 0
		.amdhsa_uses_dynamic_stack 0
		.amdhsa_system_sgpr_private_segment_wavefront_offset 0
		.amdhsa_system_sgpr_workgroup_id_x 1
		.amdhsa_system_sgpr_workgroup_id_y 0
		.amdhsa_system_sgpr_workgroup_id_z 0
		.amdhsa_system_sgpr_workgroup_info 0
		.amdhsa_system_vgpr_workitem_id 0
		.amdhsa_next_free_vgpr 10
		.amdhsa_next_free_sgpr 8
		.amdhsa_accum_offset 12
		.amdhsa_reserve_vcc 1
		.amdhsa_reserve_flat_scratch 0
		.amdhsa_float_round_mode_32 0
		.amdhsa_float_round_mode_16_64 0
		.amdhsa_float_denorm_mode_32 3
		.amdhsa_float_denorm_mode_16_64 3
		.amdhsa_dx10_clamp 1
		.amdhsa_ieee_mode 1
		.amdhsa_fp16_overflow 0
		.amdhsa_tg_split 0
		.amdhsa_exception_fp_ieee_invalid_op 0
		.amdhsa_exception_fp_denorm_src 0
		.amdhsa_exception_fp_ieee_div_zero 0
		.amdhsa_exception_fp_ieee_overflow 0
		.amdhsa_exception_fp_ieee_underflow 0
		.amdhsa_exception_fp_ieee_inexact 0
		.amdhsa_exception_int_div_zero 0
	.end_amdhsa_kernel
	.section	.text._Z33head_segmented_warp_reduce_kernelIfhLj60ELj15EENSt9enable_ifIXsr10test_utilsE35device_test_enabled_for_warp_size_vIXT2_EEEvE4typeEPT_PT0_S4_,"axG",@progbits,_Z33head_segmented_warp_reduce_kernelIfhLj60ELj15EENSt9enable_ifIXsr10test_utilsE35device_test_enabled_for_warp_size_vIXT2_EEEvE4typeEPT_PT0_S4_,comdat
.Lfunc_end133:
	.size	_Z33head_segmented_warp_reduce_kernelIfhLj60ELj15EENSt9enable_ifIXsr10test_utilsE35device_test_enabled_for_warp_size_vIXT2_EEEvE4typeEPT_PT0_S4_, .Lfunc_end133-_Z33head_segmented_warp_reduce_kernelIfhLj60ELj15EENSt9enable_ifIXsr10test_utilsE35device_test_enabled_for_warp_size_vIXT2_EEEvE4typeEPT_PT0_S4_
                                        ; -- End function
	.section	.AMDGPU.csdata,"",@progbits
; Kernel info:
; codeLenInByte = 412
; NumSgprs: 12
; NumVgprs: 10
; NumAgprs: 0
; TotalNumVgprs: 10
; ScratchSize: 0
; MemoryBound: 0
; FloatMode: 240
; IeeeMode: 1
; LDSByteSize: 240 bytes/workgroup (compile time only)
; SGPRBlocks: 1
; VGPRBlocks: 1
; NumSGPRsForWavesPerEU: 12
; NumVGPRsForWavesPerEU: 10
; AccumOffset: 12
; Occupancy: 8
; WaveLimiterHint : 0
; COMPUTE_PGM_RSRC2:SCRATCH_EN: 0
; COMPUTE_PGM_RSRC2:USER_SGPR: 6
; COMPUTE_PGM_RSRC2:TRAP_HANDLER: 0
; COMPUTE_PGM_RSRC2:TGID_X_EN: 1
; COMPUTE_PGM_RSRC2:TGID_Y_EN: 0
; COMPUTE_PGM_RSRC2:TGID_Z_EN: 0
; COMPUTE_PGM_RSRC2:TIDIG_COMP_CNT: 0
; COMPUTE_PGM_RSRC3_GFX90A:ACCUM_OFFSET: 2
; COMPUTE_PGM_RSRC3_GFX90A:TG_SPLIT: 0
	.section	.text._Z33head_segmented_warp_reduce_kernelIfhLj28ELj7EENSt9enable_ifIXsr10test_utilsE35device_test_enabled_for_warp_size_vIXT2_EEEvE4typeEPT_PT0_S4_,"axG",@progbits,_Z33head_segmented_warp_reduce_kernelIfhLj28ELj7EENSt9enable_ifIXsr10test_utilsE35device_test_enabled_for_warp_size_vIXT2_EEEvE4typeEPT_PT0_S4_,comdat
	.protected	_Z33head_segmented_warp_reduce_kernelIfhLj28ELj7EENSt9enable_ifIXsr10test_utilsE35device_test_enabled_for_warp_size_vIXT2_EEEvE4typeEPT_PT0_S4_ ; -- Begin function _Z33head_segmented_warp_reduce_kernelIfhLj28ELj7EENSt9enable_ifIXsr10test_utilsE35device_test_enabled_for_warp_size_vIXT2_EEEvE4typeEPT_PT0_S4_
	.globl	_Z33head_segmented_warp_reduce_kernelIfhLj28ELj7EENSt9enable_ifIXsr10test_utilsE35device_test_enabled_for_warp_size_vIXT2_EEEvE4typeEPT_PT0_S4_
	.p2align	8
	.type	_Z33head_segmented_warp_reduce_kernelIfhLj28ELj7EENSt9enable_ifIXsr10test_utilsE35device_test_enabled_for_warp_size_vIXT2_EEEvE4typeEPT_PT0_S4_,@function
_Z33head_segmented_warp_reduce_kernelIfhLj28ELj7EENSt9enable_ifIXsr10test_utilsE35device_test_enabled_for_warp_size_vIXT2_EEEvE4typeEPT_PT0_S4_: ; @_Z33head_segmented_warp_reduce_kernelIfhLj28ELj7EENSt9enable_ifIXsr10test_utilsE35device_test_enabled_for_warp_size_vIXT2_EEEvE4typeEPT_PT0_S4_
; %bb.0:
	s_load_dword s2, s[4:5], 0x24
	s_load_dwordx4 s[8:11], s[4:5], 0x0
	s_load_dwordx2 s[0:1], s[4:5], 0x10
	v_mov_b32_e32 v5, 0
	s_waitcnt lgkmcnt(0)
	s_and_b32 s2, s2, 0xffff
	s_mul_i32 s6, s6, s2
	v_add_u32_e32 v4, s6, v0
	global_load_ubyte v8, v4, s[10:11]
	v_lshlrev_b64 v[2:3], 2, v[4:5]
	v_mov_b32_e32 v1, s9
	v_add_co_u32_e32 v4, vcc, s8, v2
	v_addc_co_u32_e32 v5, vcc, v1, v3, vcc
	global_load_dword v1, v[4:5], off
	v_mbcnt_lo_u32_b32 v4, -1, 0
	s_mov_b32 s2, 0x24924925
	v_mul_u32_u24_e32 v0, 0x2493, v0
	v_mbcnt_hi_u32_b32 v4, -1, v4
	v_lshrrev_b32_e32 v5, 16, v0
	v_mul_hi_u32 v0, v4, s2
	v_lshlrev_b64 v[6:7], v4, -1
	v_mul_u32_u24_e32 v9, 7, v0
	v_sub_u32_e32 v0, v4, v9
	v_lshlrev_b32_e32 v4, 2, v0
	v_mad_u32_u24 v4, v5, 28, v4
	s_waitcnt vmcnt(1)
	v_cmp_ne_u16_e32 vcc, 0, v8
	s_lshr_b64 s[2:3], vcc, 1
	v_and_b32_e32 v7, s3, v7
	v_and_b32_e32 v6, s2, v6
	v_lshrrev_b64 v[6:7], v9, v[6:7]
	v_or_b32_e32 v5, 64, v6
	v_ffbl_b32_e32 v6, v7
	v_add_u32_e32 v6, 32, v6
	v_ffbl_b32_e32 v5, v5
	v_min_u32_e32 v5, v5, v6
	v_cmp_lt_u32_e32 vcc, v0, v5
	s_waitcnt vmcnt(0)
	ds_write_b32 v4, v1
	; wave barrier
	s_and_saveexec_b64 s[2:3], vcc
	s_cbranch_execz .LBB134_2
; %bb.1:
	ds_read_b32 v6, v4 offset:4
	s_waitcnt lgkmcnt(0)
	v_add_f32_e32 v1, v1, v6
.LBB134_2:
	s_or_b64 exec, exec, s[2:3]
	v_add_u32_e32 v6, 2, v0
	v_cmp_le_u32_e32 vcc, v6, v5
	; wave barrier
	ds_write_b32 v4, v1
	; wave barrier
	s_and_saveexec_b64 s[2:3], vcc
	s_cbranch_execz .LBB134_4
; %bb.3:
	ds_read_b32 v6, v4 offset:8
	s_waitcnt lgkmcnt(0)
	v_add_f32_e32 v1, v1, v6
.LBB134_4:
	s_or_b64 exec, exec, s[2:3]
	v_add_u32_e32 v0, 4, v0
	v_cmp_le_u32_e32 vcc, v0, v5
	; wave barrier
	ds_write_b32 v4, v1
	; wave barrier
	s_and_saveexec_b64 s[2:3], vcc
	s_cbranch_execz .LBB134_6
; %bb.5:
	ds_read_b32 v0, v4 offset:16
	s_waitcnt lgkmcnt(0)
	v_add_f32_e32 v1, v1, v0
.LBB134_6:
	s_or_b64 exec, exec, s[2:3]
	v_mov_b32_e32 v0, s1
	v_add_co_u32_e32 v2, vcc, s0, v2
	v_addc_co_u32_e32 v3, vcc, v0, v3, vcc
	; wave barrier
	global_store_dword v[2:3], v1, off
	s_endpgm
	.section	.rodata,"a",@progbits
	.p2align	6, 0x0
	.amdhsa_kernel _Z33head_segmented_warp_reduce_kernelIfhLj28ELj7EENSt9enable_ifIXsr10test_utilsE35device_test_enabled_for_warp_size_vIXT2_EEEvE4typeEPT_PT0_S4_
		.amdhsa_group_segment_fixed_size 112
		.amdhsa_private_segment_fixed_size 0
		.amdhsa_kernarg_size 280
		.amdhsa_user_sgpr_count 6
		.amdhsa_user_sgpr_private_segment_buffer 1
		.amdhsa_user_sgpr_dispatch_ptr 0
		.amdhsa_user_sgpr_queue_ptr 0
		.amdhsa_user_sgpr_kernarg_segment_ptr 1
		.amdhsa_user_sgpr_dispatch_id 0
		.amdhsa_user_sgpr_flat_scratch_init 0
		.amdhsa_user_sgpr_kernarg_preload_length 0
		.amdhsa_user_sgpr_kernarg_preload_offset 0
		.amdhsa_user_sgpr_private_segment_size 0
		.amdhsa_uses_dynamic_stack 0
		.amdhsa_system_sgpr_private_segment_wavefront_offset 0
		.amdhsa_system_sgpr_workgroup_id_x 1
		.amdhsa_system_sgpr_workgroup_id_y 0
		.amdhsa_system_sgpr_workgroup_id_z 0
		.amdhsa_system_sgpr_workgroup_info 0
		.amdhsa_system_vgpr_workitem_id 0
		.amdhsa_next_free_vgpr 10
		.amdhsa_next_free_sgpr 12
		.amdhsa_accum_offset 12
		.amdhsa_reserve_vcc 1
		.amdhsa_reserve_flat_scratch 0
		.amdhsa_float_round_mode_32 0
		.amdhsa_float_round_mode_16_64 0
		.amdhsa_float_denorm_mode_32 3
		.amdhsa_float_denorm_mode_16_64 3
		.amdhsa_dx10_clamp 1
		.amdhsa_ieee_mode 1
		.amdhsa_fp16_overflow 0
		.amdhsa_tg_split 0
		.amdhsa_exception_fp_ieee_invalid_op 0
		.amdhsa_exception_fp_denorm_src 0
		.amdhsa_exception_fp_ieee_div_zero 0
		.amdhsa_exception_fp_ieee_overflow 0
		.amdhsa_exception_fp_ieee_underflow 0
		.amdhsa_exception_fp_ieee_inexact 0
		.amdhsa_exception_int_div_zero 0
	.end_amdhsa_kernel
	.section	.text._Z33head_segmented_warp_reduce_kernelIfhLj28ELj7EENSt9enable_ifIXsr10test_utilsE35device_test_enabled_for_warp_size_vIXT2_EEEvE4typeEPT_PT0_S4_,"axG",@progbits,_Z33head_segmented_warp_reduce_kernelIfhLj28ELj7EENSt9enable_ifIXsr10test_utilsE35device_test_enabled_for_warp_size_vIXT2_EEEvE4typeEPT_PT0_S4_,comdat
.Lfunc_end134:
	.size	_Z33head_segmented_warp_reduce_kernelIfhLj28ELj7EENSt9enable_ifIXsr10test_utilsE35device_test_enabled_for_warp_size_vIXT2_EEEvE4typeEPT_PT0_S4_, .Lfunc_end134-_Z33head_segmented_warp_reduce_kernelIfhLj28ELj7EENSt9enable_ifIXsr10test_utilsE35device_test_enabled_for_warp_size_vIXT2_EEEvE4typeEPT_PT0_S4_
                                        ; -- End function
	.section	.AMDGPU.csdata,"",@progbits
; Kernel info:
; codeLenInByte = 360
; NumSgprs: 16
; NumVgprs: 10
; NumAgprs: 0
; TotalNumVgprs: 10
; ScratchSize: 0
; MemoryBound: 0
; FloatMode: 240
; IeeeMode: 1
; LDSByteSize: 112 bytes/workgroup (compile time only)
; SGPRBlocks: 1
; VGPRBlocks: 1
; NumSGPRsForWavesPerEU: 16
; NumVGPRsForWavesPerEU: 10
; AccumOffset: 12
; Occupancy: 8
; WaveLimiterHint : 0
; COMPUTE_PGM_RSRC2:SCRATCH_EN: 0
; COMPUTE_PGM_RSRC2:USER_SGPR: 6
; COMPUTE_PGM_RSRC2:TRAP_HANDLER: 0
; COMPUTE_PGM_RSRC2:TGID_X_EN: 1
; COMPUTE_PGM_RSRC2:TGID_Y_EN: 0
; COMPUTE_PGM_RSRC2:TGID_Z_EN: 0
; COMPUTE_PGM_RSRC2:TIDIG_COMP_CNT: 0
; COMPUTE_PGM_RSRC3_GFX90A:ACCUM_OFFSET: 2
; COMPUTE_PGM_RSRC3_GFX90A:TG_SPLIT: 0
	.section	.text._Z33head_segmented_warp_reduce_kernelIfhLj63ELj7EENSt9enable_ifIXsr10test_utilsE35device_test_enabled_for_warp_size_vIXT2_EEEvE4typeEPT_PT0_S4_,"axG",@progbits,_Z33head_segmented_warp_reduce_kernelIfhLj63ELj7EENSt9enable_ifIXsr10test_utilsE35device_test_enabled_for_warp_size_vIXT2_EEEvE4typeEPT_PT0_S4_,comdat
	.protected	_Z33head_segmented_warp_reduce_kernelIfhLj63ELj7EENSt9enable_ifIXsr10test_utilsE35device_test_enabled_for_warp_size_vIXT2_EEEvE4typeEPT_PT0_S4_ ; -- Begin function _Z33head_segmented_warp_reduce_kernelIfhLj63ELj7EENSt9enable_ifIXsr10test_utilsE35device_test_enabled_for_warp_size_vIXT2_EEEvE4typeEPT_PT0_S4_
	.globl	_Z33head_segmented_warp_reduce_kernelIfhLj63ELj7EENSt9enable_ifIXsr10test_utilsE35device_test_enabled_for_warp_size_vIXT2_EEEvE4typeEPT_PT0_S4_
	.p2align	8
	.type	_Z33head_segmented_warp_reduce_kernelIfhLj63ELj7EENSt9enable_ifIXsr10test_utilsE35device_test_enabled_for_warp_size_vIXT2_EEEvE4typeEPT_PT0_S4_,@function
_Z33head_segmented_warp_reduce_kernelIfhLj63ELj7EENSt9enable_ifIXsr10test_utilsE35device_test_enabled_for_warp_size_vIXT2_EEEvE4typeEPT_PT0_S4_: ; @_Z33head_segmented_warp_reduce_kernelIfhLj63ELj7EENSt9enable_ifIXsr10test_utilsE35device_test_enabled_for_warp_size_vIXT2_EEEvE4typeEPT_PT0_S4_
; %bb.0:
	s_load_dword s2, s[4:5], 0x24
	s_load_dwordx4 s[8:11], s[4:5], 0x0
	s_load_dwordx2 s[0:1], s[4:5], 0x10
	v_mov_b32_e32 v5, 0
	s_waitcnt lgkmcnt(0)
	s_and_b32 s2, s2, 0xffff
	s_mul_i32 s6, s6, s2
	v_add_u32_e32 v4, s6, v0
	global_load_ubyte v8, v4, s[10:11]
	v_lshlrev_b64 v[2:3], 2, v[4:5]
	v_mov_b32_e32 v1, s9
	v_add_co_u32_e32 v4, vcc, s8, v2
	v_addc_co_u32_e32 v5, vcc, v1, v3, vcc
	global_load_dword v1, v[4:5], off
	v_mbcnt_lo_u32_b32 v4, -1, 0
	s_mov_b32 s2, 0x24924925
	v_mul_u32_u24_e32 v0, 0x2493, v0
	v_mbcnt_hi_u32_b32 v4, -1, v4
	v_lshrrev_b32_e32 v5, 16, v0
	v_mul_hi_u32 v0, v4, s2
	v_lshlrev_b64 v[6:7], v4, -1
	v_mul_u32_u24_e32 v9, 7, v0
	v_sub_u32_e32 v0, v4, v9
	v_lshlrev_b32_e32 v4, 2, v0
	v_mad_u32_u24 v4, v5, 28, v4
	s_waitcnt vmcnt(1)
	v_cmp_ne_u16_e32 vcc, 0, v8
	s_lshr_b64 s[2:3], vcc, 1
	v_and_b32_e32 v7, s3, v7
	v_and_b32_e32 v6, s2, v6
	v_lshrrev_b64 v[6:7], v9, v[6:7]
	v_or_b32_e32 v5, 64, v6
	v_ffbl_b32_e32 v6, v7
	v_add_u32_e32 v6, 32, v6
	v_ffbl_b32_e32 v5, v5
	v_min_u32_e32 v5, v5, v6
	v_cmp_lt_u32_e32 vcc, v0, v5
	s_waitcnt vmcnt(0)
	ds_write_b32 v4, v1
	; wave barrier
	s_and_saveexec_b64 s[2:3], vcc
	s_cbranch_execz .LBB135_2
; %bb.1:
	ds_read_b32 v6, v4 offset:4
	s_waitcnt lgkmcnt(0)
	v_add_f32_e32 v1, v1, v6
.LBB135_2:
	s_or_b64 exec, exec, s[2:3]
	v_add_u32_e32 v6, 2, v0
	v_cmp_le_u32_e32 vcc, v6, v5
	; wave barrier
	ds_write_b32 v4, v1
	; wave barrier
	s_and_saveexec_b64 s[2:3], vcc
	s_cbranch_execz .LBB135_4
; %bb.3:
	ds_read_b32 v6, v4 offset:8
	s_waitcnt lgkmcnt(0)
	v_add_f32_e32 v1, v1, v6
.LBB135_4:
	s_or_b64 exec, exec, s[2:3]
	v_add_u32_e32 v0, 4, v0
	v_cmp_le_u32_e32 vcc, v0, v5
	; wave barrier
	ds_write_b32 v4, v1
	; wave barrier
	s_and_saveexec_b64 s[2:3], vcc
	s_cbranch_execz .LBB135_6
; %bb.5:
	ds_read_b32 v0, v4 offset:16
	s_waitcnt lgkmcnt(0)
	v_add_f32_e32 v1, v1, v0
.LBB135_6:
	s_or_b64 exec, exec, s[2:3]
	v_mov_b32_e32 v0, s1
	v_add_co_u32_e32 v2, vcc, s0, v2
	v_addc_co_u32_e32 v3, vcc, v0, v3, vcc
	; wave barrier
	global_store_dword v[2:3], v1, off
	s_endpgm
	.section	.rodata,"a",@progbits
	.p2align	6, 0x0
	.amdhsa_kernel _Z33head_segmented_warp_reduce_kernelIfhLj63ELj7EENSt9enable_ifIXsr10test_utilsE35device_test_enabled_for_warp_size_vIXT2_EEEvE4typeEPT_PT0_S4_
		.amdhsa_group_segment_fixed_size 252
		.amdhsa_private_segment_fixed_size 0
		.amdhsa_kernarg_size 280
		.amdhsa_user_sgpr_count 6
		.amdhsa_user_sgpr_private_segment_buffer 1
		.amdhsa_user_sgpr_dispatch_ptr 0
		.amdhsa_user_sgpr_queue_ptr 0
		.amdhsa_user_sgpr_kernarg_segment_ptr 1
		.amdhsa_user_sgpr_dispatch_id 0
		.amdhsa_user_sgpr_flat_scratch_init 0
		.amdhsa_user_sgpr_kernarg_preload_length 0
		.amdhsa_user_sgpr_kernarg_preload_offset 0
		.amdhsa_user_sgpr_private_segment_size 0
		.amdhsa_uses_dynamic_stack 0
		.amdhsa_system_sgpr_private_segment_wavefront_offset 0
		.amdhsa_system_sgpr_workgroup_id_x 1
		.amdhsa_system_sgpr_workgroup_id_y 0
		.amdhsa_system_sgpr_workgroup_id_z 0
		.amdhsa_system_sgpr_workgroup_info 0
		.amdhsa_system_vgpr_workitem_id 0
		.amdhsa_next_free_vgpr 10
		.amdhsa_next_free_sgpr 12
		.amdhsa_accum_offset 12
		.amdhsa_reserve_vcc 1
		.amdhsa_reserve_flat_scratch 0
		.amdhsa_float_round_mode_32 0
		.amdhsa_float_round_mode_16_64 0
		.amdhsa_float_denorm_mode_32 3
		.amdhsa_float_denorm_mode_16_64 3
		.amdhsa_dx10_clamp 1
		.amdhsa_ieee_mode 1
		.amdhsa_fp16_overflow 0
		.amdhsa_tg_split 0
		.amdhsa_exception_fp_ieee_invalid_op 0
		.amdhsa_exception_fp_denorm_src 0
		.amdhsa_exception_fp_ieee_div_zero 0
		.amdhsa_exception_fp_ieee_overflow 0
		.amdhsa_exception_fp_ieee_underflow 0
		.amdhsa_exception_fp_ieee_inexact 0
		.amdhsa_exception_int_div_zero 0
	.end_amdhsa_kernel
	.section	.text._Z33head_segmented_warp_reduce_kernelIfhLj63ELj7EENSt9enable_ifIXsr10test_utilsE35device_test_enabled_for_warp_size_vIXT2_EEEvE4typeEPT_PT0_S4_,"axG",@progbits,_Z33head_segmented_warp_reduce_kernelIfhLj63ELj7EENSt9enable_ifIXsr10test_utilsE35device_test_enabled_for_warp_size_vIXT2_EEEvE4typeEPT_PT0_S4_,comdat
.Lfunc_end135:
	.size	_Z33head_segmented_warp_reduce_kernelIfhLj63ELj7EENSt9enable_ifIXsr10test_utilsE35device_test_enabled_for_warp_size_vIXT2_EEEvE4typeEPT_PT0_S4_, .Lfunc_end135-_Z33head_segmented_warp_reduce_kernelIfhLj63ELj7EENSt9enable_ifIXsr10test_utilsE35device_test_enabled_for_warp_size_vIXT2_EEEvE4typeEPT_PT0_S4_
                                        ; -- End function
	.section	.AMDGPU.csdata,"",@progbits
; Kernel info:
; codeLenInByte = 360
; NumSgprs: 16
; NumVgprs: 10
; NumAgprs: 0
; TotalNumVgprs: 10
; ScratchSize: 0
; MemoryBound: 0
; FloatMode: 240
; IeeeMode: 1
; LDSByteSize: 252 bytes/workgroup (compile time only)
; SGPRBlocks: 1
; VGPRBlocks: 1
; NumSGPRsForWavesPerEU: 16
; NumVGPRsForWavesPerEU: 10
; AccumOffset: 12
; Occupancy: 8
; WaveLimiterHint : 0
; COMPUTE_PGM_RSRC2:SCRATCH_EN: 0
; COMPUTE_PGM_RSRC2:USER_SGPR: 6
; COMPUTE_PGM_RSRC2:TRAP_HANDLER: 0
; COMPUTE_PGM_RSRC2:TGID_X_EN: 1
; COMPUTE_PGM_RSRC2:TGID_Y_EN: 0
; COMPUTE_PGM_RSRC2:TGID_Z_EN: 0
; COMPUTE_PGM_RSRC2:TIDIG_COMP_CNT: 0
; COMPUTE_PGM_RSRC3_GFX90A:ACCUM_OFFSET: 2
; COMPUTE_PGM_RSRC3_GFX90A:TG_SPLIT: 0
	.section	.text._Z33head_segmented_warp_reduce_kernelIfhLj30ELj3EENSt9enable_ifIXsr10test_utilsE35device_test_enabled_for_warp_size_vIXT2_EEEvE4typeEPT_PT0_S4_,"axG",@progbits,_Z33head_segmented_warp_reduce_kernelIfhLj30ELj3EENSt9enable_ifIXsr10test_utilsE35device_test_enabled_for_warp_size_vIXT2_EEEvE4typeEPT_PT0_S4_,comdat
	.protected	_Z33head_segmented_warp_reduce_kernelIfhLj30ELj3EENSt9enable_ifIXsr10test_utilsE35device_test_enabled_for_warp_size_vIXT2_EEEvE4typeEPT_PT0_S4_ ; -- Begin function _Z33head_segmented_warp_reduce_kernelIfhLj30ELj3EENSt9enable_ifIXsr10test_utilsE35device_test_enabled_for_warp_size_vIXT2_EEEvE4typeEPT_PT0_S4_
	.globl	_Z33head_segmented_warp_reduce_kernelIfhLj30ELj3EENSt9enable_ifIXsr10test_utilsE35device_test_enabled_for_warp_size_vIXT2_EEEvE4typeEPT_PT0_S4_
	.p2align	8
	.type	_Z33head_segmented_warp_reduce_kernelIfhLj30ELj3EENSt9enable_ifIXsr10test_utilsE35device_test_enabled_for_warp_size_vIXT2_EEEvE4typeEPT_PT0_S4_,@function
_Z33head_segmented_warp_reduce_kernelIfhLj30ELj3EENSt9enable_ifIXsr10test_utilsE35device_test_enabled_for_warp_size_vIXT2_EEEvE4typeEPT_PT0_S4_: ; @_Z33head_segmented_warp_reduce_kernelIfhLj30ELj3EENSt9enable_ifIXsr10test_utilsE35device_test_enabled_for_warp_size_vIXT2_EEEvE4typeEPT_PT0_S4_
; %bb.0:
	s_load_dword s2, s[4:5], 0x24
	s_load_dwordx4 s[8:11], s[4:5], 0x0
	s_load_dwordx2 s[0:1], s[4:5], 0x10
	v_mov_b32_e32 v5, 0
	s_waitcnt lgkmcnt(0)
	s_and_b32 s2, s2, 0xffff
	s_mul_i32 s6, s6, s2
	v_add_u32_e32 v4, s6, v0
	global_load_ubyte v8, v4, s[10:11]
	v_lshlrev_b64 v[2:3], 2, v[4:5]
	v_mov_b32_e32 v1, s9
	v_add_co_u32_e32 v4, vcc, s8, v2
	v_addc_co_u32_e32 v5, vcc, v1, v3, vcc
	global_load_dword v1, v[4:5], off
	v_mbcnt_lo_u32_b32 v4, -1, 0
	s_mov_b32 s2, 0x55555556
	v_mul_u32_u24_e32 v0, 0x5556, v0
	v_mbcnt_hi_u32_b32 v4, -1, v4
	v_lshrrev_b32_e32 v5, 16, v0
	v_mul_hi_u32 v0, v4, s2
	v_lshlrev_b64 v[6:7], v4, -1
	v_mul_u32_u24_e32 v9, 3, v0
	v_sub_u32_e32 v0, v4, v9
	v_lshlrev_b32_e32 v4, 2, v0
	v_mad_u32_u24 v4, v5, 12, v4
	s_waitcnt vmcnt(1)
	v_cmp_ne_u16_e32 vcc, 0, v8
	s_lshr_b64 s[2:3], vcc, 1
	v_and_b32_e32 v7, s3, v7
	v_and_b32_e32 v6, s2, v6
	v_lshrrev_b64 v[6:7], v9, v[6:7]
	v_or_b32_e32 v5, 4, v6
	v_ffbl_b32_e32 v6, v7
	v_add_u32_e32 v6, 32, v6
	v_ffbl_b32_e32 v5, v5
	v_min_u32_e32 v5, v5, v6
	v_cmp_lt_u32_e32 vcc, v0, v5
	s_waitcnt vmcnt(0)
	ds_write_b32 v4, v1
	; wave barrier
	s_and_saveexec_b64 s[2:3], vcc
	s_cbranch_execz .LBB136_2
; %bb.1:
	ds_read_b32 v6, v4 offset:4
	s_waitcnt lgkmcnt(0)
	v_add_f32_e32 v1, v1, v6
.LBB136_2:
	s_or_b64 exec, exec, s[2:3]
	v_add_u32_e32 v0, 2, v0
	v_cmp_le_u32_e32 vcc, v0, v5
	; wave barrier
	ds_write_b32 v4, v1
	; wave barrier
	s_and_saveexec_b64 s[2:3], vcc
	s_cbranch_execz .LBB136_4
; %bb.3:
	ds_read_b32 v0, v4 offset:8
	s_waitcnt lgkmcnt(0)
	v_add_f32_e32 v1, v1, v0
.LBB136_4:
	s_or_b64 exec, exec, s[2:3]
	v_mov_b32_e32 v0, s1
	v_add_co_u32_e32 v2, vcc, s0, v2
	v_addc_co_u32_e32 v3, vcc, v0, v3, vcc
	; wave barrier
	global_store_dword v[2:3], v1, off
	s_endpgm
	.section	.rodata,"a",@progbits
	.p2align	6, 0x0
	.amdhsa_kernel _Z33head_segmented_warp_reduce_kernelIfhLj30ELj3EENSt9enable_ifIXsr10test_utilsE35device_test_enabled_for_warp_size_vIXT2_EEEvE4typeEPT_PT0_S4_
		.amdhsa_group_segment_fixed_size 120
		.amdhsa_private_segment_fixed_size 0
		.amdhsa_kernarg_size 280
		.amdhsa_user_sgpr_count 6
		.amdhsa_user_sgpr_private_segment_buffer 1
		.amdhsa_user_sgpr_dispatch_ptr 0
		.amdhsa_user_sgpr_queue_ptr 0
		.amdhsa_user_sgpr_kernarg_segment_ptr 1
		.amdhsa_user_sgpr_dispatch_id 0
		.amdhsa_user_sgpr_flat_scratch_init 0
		.amdhsa_user_sgpr_kernarg_preload_length 0
		.amdhsa_user_sgpr_kernarg_preload_offset 0
		.amdhsa_user_sgpr_private_segment_size 0
		.amdhsa_uses_dynamic_stack 0
		.amdhsa_system_sgpr_private_segment_wavefront_offset 0
		.amdhsa_system_sgpr_workgroup_id_x 1
		.amdhsa_system_sgpr_workgroup_id_y 0
		.amdhsa_system_sgpr_workgroup_id_z 0
		.amdhsa_system_sgpr_workgroup_info 0
		.amdhsa_system_vgpr_workitem_id 0
		.amdhsa_next_free_vgpr 10
		.amdhsa_next_free_sgpr 12
		.amdhsa_accum_offset 12
		.amdhsa_reserve_vcc 1
		.amdhsa_reserve_flat_scratch 0
		.amdhsa_float_round_mode_32 0
		.amdhsa_float_round_mode_16_64 0
		.amdhsa_float_denorm_mode_32 3
		.amdhsa_float_denorm_mode_16_64 3
		.amdhsa_dx10_clamp 1
		.amdhsa_ieee_mode 1
		.amdhsa_fp16_overflow 0
		.amdhsa_tg_split 0
		.amdhsa_exception_fp_ieee_invalid_op 0
		.amdhsa_exception_fp_denorm_src 0
		.amdhsa_exception_fp_ieee_div_zero 0
		.amdhsa_exception_fp_ieee_overflow 0
		.amdhsa_exception_fp_ieee_underflow 0
		.amdhsa_exception_fp_ieee_inexact 0
		.amdhsa_exception_int_div_zero 0
	.end_amdhsa_kernel
	.section	.text._Z33head_segmented_warp_reduce_kernelIfhLj30ELj3EENSt9enable_ifIXsr10test_utilsE35device_test_enabled_for_warp_size_vIXT2_EEEvE4typeEPT_PT0_S4_,"axG",@progbits,_Z33head_segmented_warp_reduce_kernelIfhLj30ELj3EENSt9enable_ifIXsr10test_utilsE35device_test_enabled_for_warp_size_vIXT2_EEEvE4typeEPT_PT0_S4_,comdat
.Lfunc_end136:
	.size	_Z33head_segmented_warp_reduce_kernelIfhLj30ELj3EENSt9enable_ifIXsr10test_utilsE35device_test_enabled_for_warp_size_vIXT2_EEEvE4typeEPT_PT0_S4_, .Lfunc_end136-_Z33head_segmented_warp_reduce_kernelIfhLj30ELj3EENSt9enable_ifIXsr10test_utilsE35device_test_enabled_for_warp_size_vIXT2_EEEvE4typeEPT_PT0_S4_
                                        ; -- End function
	.section	.AMDGPU.csdata,"",@progbits
; Kernel info:
; codeLenInByte = 316
; NumSgprs: 16
; NumVgprs: 10
; NumAgprs: 0
; TotalNumVgprs: 10
; ScratchSize: 0
; MemoryBound: 0
; FloatMode: 240
; IeeeMode: 1
; LDSByteSize: 120 bytes/workgroup (compile time only)
; SGPRBlocks: 1
; VGPRBlocks: 1
; NumSGPRsForWavesPerEU: 16
; NumVGPRsForWavesPerEU: 10
; AccumOffset: 12
; Occupancy: 8
; WaveLimiterHint : 0
; COMPUTE_PGM_RSRC2:SCRATCH_EN: 0
; COMPUTE_PGM_RSRC2:USER_SGPR: 6
; COMPUTE_PGM_RSRC2:TRAP_HANDLER: 0
; COMPUTE_PGM_RSRC2:TGID_X_EN: 1
; COMPUTE_PGM_RSRC2:TGID_Y_EN: 0
; COMPUTE_PGM_RSRC2:TGID_Z_EN: 0
; COMPUTE_PGM_RSRC2:TIDIG_COMP_CNT: 0
; COMPUTE_PGM_RSRC3_GFX90A:ACCUM_OFFSET: 2
; COMPUTE_PGM_RSRC3_GFX90A:TG_SPLIT: 0
	.section	.text._Z33head_segmented_warp_reduce_kernelIfhLj63ELj3EENSt9enable_ifIXsr10test_utilsE35device_test_enabled_for_warp_size_vIXT2_EEEvE4typeEPT_PT0_S4_,"axG",@progbits,_Z33head_segmented_warp_reduce_kernelIfhLj63ELj3EENSt9enable_ifIXsr10test_utilsE35device_test_enabled_for_warp_size_vIXT2_EEEvE4typeEPT_PT0_S4_,comdat
	.protected	_Z33head_segmented_warp_reduce_kernelIfhLj63ELj3EENSt9enable_ifIXsr10test_utilsE35device_test_enabled_for_warp_size_vIXT2_EEEvE4typeEPT_PT0_S4_ ; -- Begin function _Z33head_segmented_warp_reduce_kernelIfhLj63ELj3EENSt9enable_ifIXsr10test_utilsE35device_test_enabled_for_warp_size_vIXT2_EEEvE4typeEPT_PT0_S4_
	.globl	_Z33head_segmented_warp_reduce_kernelIfhLj63ELj3EENSt9enable_ifIXsr10test_utilsE35device_test_enabled_for_warp_size_vIXT2_EEEvE4typeEPT_PT0_S4_
	.p2align	8
	.type	_Z33head_segmented_warp_reduce_kernelIfhLj63ELj3EENSt9enable_ifIXsr10test_utilsE35device_test_enabled_for_warp_size_vIXT2_EEEvE4typeEPT_PT0_S4_,@function
_Z33head_segmented_warp_reduce_kernelIfhLj63ELj3EENSt9enable_ifIXsr10test_utilsE35device_test_enabled_for_warp_size_vIXT2_EEEvE4typeEPT_PT0_S4_: ; @_Z33head_segmented_warp_reduce_kernelIfhLj63ELj3EENSt9enable_ifIXsr10test_utilsE35device_test_enabled_for_warp_size_vIXT2_EEEvE4typeEPT_PT0_S4_
; %bb.0:
	s_load_dword s2, s[4:5], 0x24
	s_load_dwordx4 s[8:11], s[4:5], 0x0
	s_load_dwordx2 s[0:1], s[4:5], 0x10
	v_mov_b32_e32 v5, 0
	s_waitcnt lgkmcnt(0)
	s_and_b32 s2, s2, 0xffff
	s_mul_i32 s6, s6, s2
	v_add_u32_e32 v4, s6, v0
	global_load_ubyte v8, v4, s[10:11]
	v_lshlrev_b64 v[2:3], 2, v[4:5]
	v_mov_b32_e32 v1, s9
	v_add_co_u32_e32 v4, vcc, s8, v2
	v_addc_co_u32_e32 v5, vcc, v1, v3, vcc
	global_load_dword v1, v[4:5], off
	v_mbcnt_lo_u32_b32 v4, -1, 0
	s_mov_b32 s2, 0x55555556
	v_mul_u32_u24_e32 v0, 0x5556, v0
	v_mbcnt_hi_u32_b32 v4, -1, v4
	v_lshrrev_b32_e32 v5, 16, v0
	v_mul_hi_u32 v0, v4, s2
	v_lshlrev_b64 v[6:7], v4, -1
	v_mul_u32_u24_e32 v9, 3, v0
	v_sub_u32_e32 v0, v4, v9
	v_lshlrev_b32_e32 v4, 2, v0
	v_mad_u32_u24 v4, v5, 12, v4
	s_waitcnt vmcnt(1)
	v_cmp_ne_u16_e32 vcc, 0, v8
	s_lshr_b64 s[2:3], vcc, 1
	v_and_b32_e32 v7, s3, v7
	v_and_b32_e32 v6, s2, v6
	v_lshrrev_b64 v[6:7], v9, v[6:7]
	v_or_b32_e32 v5, 4, v6
	v_ffbl_b32_e32 v6, v7
	v_add_u32_e32 v6, 32, v6
	v_ffbl_b32_e32 v5, v5
	v_min_u32_e32 v5, v5, v6
	v_cmp_lt_u32_e32 vcc, v0, v5
	s_waitcnt vmcnt(0)
	ds_write_b32 v4, v1
	; wave barrier
	s_and_saveexec_b64 s[2:3], vcc
	s_cbranch_execz .LBB137_2
; %bb.1:
	ds_read_b32 v6, v4 offset:4
	s_waitcnt lgkmcnt(0)
	v_add_f32_e32 v1, v1, v6
.LBB137_2:
	s_or_b64 exec, exec, s[2:3]
	v_add_u32_e32 v0, 2, v0
	v_cmp_le_u32_e32 vcc, v0, v5
	; wave barrier
	ds_write_b32 v4, v1
	; wave barrier
	s_and_saveexec_b64 s[2:3], vcc
	s_cbranch_execz .LBB137_4
; %bb.3:
	ds_read_b32 v0, v4 offset:8
	s_waitcnt lgkmcnt(0)
	v_add_f32_e32 v1, v1, v0
.LBB137_4:
	s_or_b64 exec, exec, s[2:3]
	v_mov_b32_e32 v0, s1
	v_add_co_u32_e32 v2, vcc, s0, v2
	v_addc_co_u32_e32 v3, vcc, v0, v3, vcc
	; wave barrier
	global_store_dword v[2:3], v1, off
	s_endpgm
	.section	.rodata,"a",@progbits
	.p2align	6, 0x0
	.amdhsa_kernel _Z33head_segmented_warp_reduce_kernelIfhLj63ELj3EENSt9enable_ifIXsr10test_utilsE35device_test_enabled_for_warp_size_vIXT2_EEEvE4typeEPT_PT0_S4_
		.amdhsa_group_segment_fixed_size 252
		.amdhsa_private_segment_fixed_size 0
		.amdhsa_kernarg_size 280
		.amdhsa_user_sgpr_count 6
		.amdhsa_user_sgpr_private_segment_buffer 1
		.amdhsa_user_sgpr_dispatch_ptr 0
		.amdhsa_user_sgpr_queue_ptr 0
		.amdhsa_user_sgpr_kernarg_segment_ptr 1
		.amdhsa_user_sgpr_dispatch_id 0
		.amdhsa_user_sgpr_flat_scratch_init 0
		.amdhsa_user_sgpr_kernarg_preload_length 0
		.amdhsa_user_sgpr_kernarg_preload_offset 0
		.amdhsa_user_sgpr_private_segment_size 0
		.amdhsa_uses_dynamic_stack 0
		.amdhsa_system_sgpr_private_segment_wavefront_offset 0
		.amdhsa_system_sgpr_workgroup_id_x 1
		.amdhsa_system_sgpr_workgroup_id_y 0
		.amdhsa_system_sgpr_workgroup_id_z 0
		.amdhsa_system_sgpr_workgroup_info 0
		.amdhsa_system_vgpr_workitem_id 0
		.amdhsa_next_free_vgpr 10
		.amdhsa_next_free_sgpr 12
		.amdhsa_accum_offset 12
		.amdhsa_reserve_vcc 1
		.amdhsa_reserve_flat_scratch 0
		.amdhsa_float_round_mode_32 0
		.amdhsa_float_round_mode_16_64 0
		.amdhsa_float_denorm_mode_32 3
		.amdhsa_float_denorm_mode_16_64 3
		.amdhsa_dx10_clamp 1
		.amdhsa_ieee_mode 1
		.amdhsa_fp16_overflow 0
		.amdhsa_tg_split 0
		.amdhsa_exception_fp_ieee_invalid_op 0
		.amdhsa_exception_fp_denorm_src 0
		.amdhsa_exception_fp_ieee_div_zero 0
		.amdhsa_exception_fp_ieee_overflow 0
		.amdhsa_exception_fp_ieee_underflow 0
		.amdhsa_exception_fp_ieee_inexact 0
		.amdhsa_exception_int_div_zero 0
	.end_amdhsa_kernel
	.section	.text._Z33head_segmented_warp_reduce_kernelIfhLj63ELj3EENSt9enable_ifIXsr10test_utilsE35device_test_enabled_for_warp_size_vIXT2_EEEvE4typeEPT_PT0_S4_,"axG",@progbits,_Z33head_segmented_warp_reduce_kernelIfhLj63ELj3EENSt9enable_ifIXsr10test_utilsE35device_test_enabled_for_warp_size_vIXT2_EEEvE4typeEPT_PT0_S4_,comdat
.Lfunc_end137:
	.size	_Z33head_segmented_warp_reduce_kernelIfhLj63ELj3EENSt9enable_ifIXsr10test_utilsE35device_test_enabled_for_warp_size_vIXT2_EEEvE4typeEPT_PT0_S4_, .Lfunc_end137-_Z33head_segmented_warp_reduce_kernelIfhLj63ELj3EENSt9enable_ifIXsr10test_utilsE35device_test_enabled_for_warp_size_vIXT2_EEEvE4typeEPT_PT0_S4_
                                        ; -- End function
	.section	.AMDGPU.csdata,"",@progbits
; Kernel info:
; codeLenInByte = 316
; NumSgprs: 16
; NumVgprs: 10
; NumAgprs: 0
; TotalNumVgprs: 10
; ScratchSize: 0
; MemoryBound: 0
; FloatMode: 240
; IeeeMode: 1
; LDSByteSize: 252 bytes/workgroup (compile time only)
; SGPRBlocks: 1
; VGPRBlocks: 1
; NumSGPRsForWavesPerEU: 16
; NumVGPRsForWavesPerEU: 10
; AccumOffset: 12
; Occupancy: 8
; WaveLimiterHint : 0
; COMPUTE_PGM_RSRC2:SCRATCH_EN: 0
; COMPUTE_PGM_RSRC2:USER_SGPR: 6
; COMPUTE_PGM_RSRC2:TRAP_HANDLER: 0
; COMPUTE_PGM_RSRC2:TGID_X_EN: 1
; COMPUTE_PGM_RSRC2:TGID_Y_EN: 0
; COMPUTE_PGM_RSRC2:TGID_Z_EN: 0
; COMPUTE_PGM_RSRC2:TIDIG_COMP_CNT: 0
; COMPUTE_PGM_RSRC3_GFX90A:ACCUM_OFFSET: 2
; COMPUTE_PGM_RSRC3_GFX90A:TG_SPLIT: 0
	.section	.text._Z33head_segmented_warp_reduce_kernelIihLj1ELj61EENSt9enable_ifIXsr10test_utilsE35device_test_enabled_for_warp_size_vIXT2_EEEvE4typeEPT_PT0_S4_,"axG",@progbits,_Z33head_segmented_warp_reduce_kernelIihLj1ELj61EENSt9enable_ifIXsr10test_utilsE35device_test_enabled_for_warp_size_vIXT2_EEEvE4typeEPT_PT0_S4_,comdat
	.protected	_Z33head_segmented_warp_reduce_kernelIihLj1ELj61EENSt9enable_ifIXsr10test_utilsE35device_test_enabled_for_warp_size_vIXT2_EEEvE4typeEPT_PT0_S4_ ; -- Begin function _Z33head_segmented_warp_reduce_kernelIihLj1ELj61EENSt9enable_ifIXsr10test_utilsE35device_test_enabled_for_warp_size_vIXT2_EEEvE4typeEPT_PT0_S4_
	.globl	_Z33head_segmented_warp_reduce_kernelIihLj1ELj61EENSt9enable_ifIXsr10test_utilsE35device_test_enabled_for_warp_size_vIXT2_EEEvE4typeEPT_PT0_S4_
	.p2align	8
	.type	_Z33head_segmented_warp_reduce_kernelIihLj1ELj61EENSt9enable_ifIXsr10test_utilsE35device_test_enabled_for_warp_size_vIXT2_EEEvE4typeEPT_PT0_S4_,@function
_Z33head_segmented_warp_reduce_kernelIihLj1ELj61EENSt9enable_ifIXsr10test_utilsE35device_test_enabled_for_warp_size_vIXT2_EEEvE4typeEPT_PT0_S4_: ; @_Z33head_segmented_warp_reduce_kernelIihLj1ELj61EENSt9enable_ifIXsr10test_utilsE35device_test_enabled_for_warp_size_vIXT2_EEEvE4typeEPT_PT0_S4_
; %bb.0:
	s_load_dword s0, s[4:5], 0x24
	s_load_dwordx4 s[8:11], s[4:5], 0x0
	s_mov_b32 s1, 0
	s_mov_b32 s2, 0x4325c54
	s_waitcnt lgkmcnt(0)
	s_and_b32 s0, s0, 0xffff
	s_mul_i32 s0, s6, s0
	v_mov_b32_e32 v0, s0
	global_load_ubyte v1, v0, s[10:11]
	v_mbcnt_lo_u32_b32 v0, -1, 0
	v_mbcnt_hi_u32_b32 v0, -1, v0
	s_lshl_b64 s[0:1], s[0:1], 2
	v_mul_hi_u32 v4, v0, s2
	s_add_u32 s2, s8, s0
	v_lshlrev_b64 v[2:3], v0, -1
	s_addc_u32 s3, s9, s1
	v_mul_u32_u24_e32 v4, 61, v4
	s_load_dword s2, s[2:3], 0x0
	v_sub_u32_e32 v5, v0, v4
	v_readfirstlane_b32 s6, v5
	v_lshlrev_b32_e32 v0, 2, v5
	s_waitcnt lgkmcnt(0)
	v_mov_b32_e32 v6, s2
	ds_write_b32 v0, v6
	; wave barrier
	s_waitcnt vmcnt(0)
	v_cmp_ne_u16_e32 vcc, 0, v1
	s_lshr_b64 s[8:9], vcc, 1
	v_and_b32_e32 v3, s9, v3
	v_and_b32_e32 v2, s8, v2
	v_lshrrev_b64 v[2:3], v4, v[2:3]
	v_or_b32_e32 v1, 0x10000000, v3
	v_ffbl_b32_e32 v1, v1
	v_ffbl_b32_e32 v2, v2
	v_add_u32_e32 v1, 32, v1
	v_min_u32_e32 v1, v2, v1
	v_cmp_ge_u32_e32 vcc, v5, v1
	v_readfirstlane_b32 s7, v1
	s_and_b64 s[8:9], vcc, exec
	s_cbranch_scc1 .LBB138_2
; %bb.1:
	ds_read_b32 v1, v0 offset:4
	s_waitcnt lgkmcnt(0)
	v_add_u32_e32 v1, s2, v1
	s_branch .LBB138_3
.LBB138_2:
	v_mov_b32_e32 v1, s2
.LBB138_3:
	s_add_i32 s2, s6, 2
	s_cmp_gt_u32 s2, s7
	; wave barrier
	ds_write_b32 v0, v1
	; wave barrier
	s_cbranch_scc1 .LBB138_5
; %bb.4:
	ds_read_b32 v2, v0 offset:8
	s_waitcnt lgkmcnt(0)
	v_add_u32_e32 v1, v2, v1
.LBB138_5:
	s_add_i32 s2, s6, 4
	s_cmp_gt_u32 s2, s7
	; wave barrier
	ds_write_b32 v0, v1
	; wave barrier
	s_cbranch_scc1 .LBB138_7
; %bb.6:
	ds_read_b32 v2, v0 offset:16
	s_waitcnt lgkmcnt(0)
	v_add_u32_e32 v1, v2, v1
.LBB138_7:
	s_load_dwordx2 s[2:3], s[4:5], 0x10
	s_add_i32 s4, s6, 8
	s_cmp_gt_u32 s4, s7
	; wave barrier
	ds_write_b32 v0, v1
	; wave barrier
	s_cbranch_scc1 .LBB138_9
; %bb.8:
	ds_read_b32 v2, v0 offset:32
	s_waitcnt lgkmcnt(0)
	v_add_u32_e32 v1, v2, v1
.LBB138_9:
	s_add_i32 s4, s6, 16
	s_cmp_gt_u32 s4, s7
	; wave barrier
	ds_write_b32 v0, v1
	; wave barrier
	s_cbranch_scc1 .LBB138_11
; %bb.10:
	ds_read_b32 v2, v0 offset:64
	s_waitcnt lgkmcnt(0)
	v_add_u32_e32 v1, v2, v1
.LBB138_11:
	;; [unrolled: 11-line block ×3, first 2 shown]
	s_waitcnt lgkmcnt(0)
	s_add_u32 s0, s2, s0
	s_addc_u32 s1, s3, s1
	v_mov_b32_e32 v0, 0
	; wave barrier
	global_store_dword v0, v1, s[0:1]
	s_endpgm
	.section	.rodata,"a",@progbits
	.p2align	6, 0x0
	.amdhsa_kernel _Z33head_segmented_warp_reduce_kernelIihLj1ELj61EENSt9enable_ifIXsr10test_utilsE35device_test_enabled_for_warp_size_vIXT2_EEEvE4typeEPT_PT0_S4_
		.amdhsa_group_segment_fixed_size 244
		.amdhsa_private_segment_fixed_size 0
		.amdhsa_kernarg_size 280
		.amdhsa_user_sgpr_count 6
		.amdhsa_user_sgpr_private_segment_buffer 1
		.amdhsa_user_sgpr_dispatch_ptr 0
		.amdhsa_user_sgpr_queue_ptr 0
		.amdhsa_user_sgpr_kernarg_segment_ptr 1
		.amdhsa_user_sgpr_dispatch_id 0
		.amdhsa_user_sgpr_flat_scratch_init 0
		.amdhsa_user_sgpr_kernarg_preload_length 0
		.amdhsa_user_sgpr_kernarg_preload_offset 0
		.amdhsa_user_sgpr_private_segment_size 0
		.amdhsa_uses_dynamic_stack 0
		.amdhsa_system_sgpr_private_segment_wavefront_offset 0
		.amdhsa_system_sgpr_workgroup_id_x 1
		.amdhsa_system_sgpr_workgroup_id_y 0
		.amdhsa_system_sgpr_workgroup_id_z 0
		.amdhsa_system_sgpr_workgroup_info 0
		.amdhsa_system_vgpr_workitem_id 0
		.amdhsa_next_free_vgpr 7
		.amdhsa_next_free_sgpr 12
		.amdhsa_accum_offset 8
		.amdhsa_reserve_vcc 1
		.amdhsa_reserve_flat_scratch 0
		.amdhsa_float_round_mode_32 0
		.amdhsa_float_round_mode_16_64 0
		.amdhsa_float_denorm_mode_32 3
		.amdhsa_float_denorm_mode_16_64 3
		.amdhsa_dx10_clamp 1
		.amdhsa_ieee_mode 1
		.amdhsa_fp16_overflow 0
		.amdhsa_tg_split 0
		.amdhsa_exception_fp_ieee_invalid_op 0
		.amdhsa_exception_fp_denorm_src 0
		.amdhsa_exception_fp_ieee_div_zero 0
		.amdhsa_exception_fp_ieee_overflow 0
		.amdhsa_exception_fp_ieee_underflow 0
		.amdhsa_exception_fp_ieee_inexact 0
		.amdhsa_exception_int_div_zero 0
	.end_amdhsa_kernel
	.section	.text._Z33head_segmented_warp_reduce_kernelIihLj1ELj61EENSt9enable_ifIXsr10test_utilsE35device_test_enabled_for_warp_size_vIXT2_EEEvE4typeEPT_PT0_S4_,"axG",@progbits,_Z33head_segmented_warp_reduce_kernelIihLj1ELj61EENSt9enable_ifIXsr10test_utilsE35device_test_enabled_for_warp_size_vIXT2_EEEvE4typeEPT_PT0_S4_,comdat
.Lfunc_end138:
	.size	_Z33head_segmented_warp_reduce_kernelIihLj1ELj61EENSt9enable_ifIXsr10test_utilsE35device_test_enabled_for_warp_size_vIXT2_EEEvE4typeEPT_PT0_S4_, .Lfunc_end138-_Z33head_segmented_warp_reduce_kernelIihLj1ELj61EENSt9enable_ifIXsr10test_utilsE35device_test_enabled_for_warp_size_vIXT2_EEEvE4typeEPT_PT0_S4_
                                        ; -- End function
	.section	.AMDGPU.csdata,"",@progbits
; Kernel info:
; codeLenInByte = 448
; NumSgprs: 16
; NumVgprs: 7
; NumAgprs: 0
; TotalNumVgprs: 7
; ScratchSize: 0
; MemoryBound: 0
; FloatMode: 240
; IeeeMode: 1
; LDSByteSize: 244 bytes/workgroup (compile time only)
; SGPRBlocks: 1
; VGPRBlocks: 0
; NumSGPRsForWavesPerEU: 16
; NumVGPRsForWavesPerEU: 7
; AccumOffset: 8
; Occupancy: 8
; WaveLimiterHint : 0
; COMPUTE_PGM_RSRC2:SCRATCH_EN: 0
; COMPUTE_PGM_RSRC2:USER_SGPR: 6
; COMPUTE_PGM_RSRC2:TRAP_HANDLER: 0
; COMPUTE_PGM_RSRC2:TGID_X_EN: 1
; COMPUTE_PGM_RSRC2:TGID_Y_EN: 0
; COMPUTE_PGM_RSRC2:TGID_Z_EN: 0
; COMPUTE_PGM_RSRC2:TIDIG_COMP_CNT: 0
; COMPUTE_PGM_RSRC3_GFX90A:ACCUM_OFFSET: 1
; COMPUTE_PGM_RSRC3_GFX90A:TG_SPLIT: 0
	.section	.text._Z33head_segmented_warp_reduce_kernelIihLj61ELj61EENSt9enable_ifIXsr10test_utilsE35device_test_enabled_for_warp_size_vIXT2_EEEvE4typeEPT_PT0_S4_,"axG",@progbits,_Z33head_segmented_warp_reduce_kernelIihLj61ELj61EENSt9enable_ifIXsr10test_utilsE35device_test_enabled_for_warp_size_vIXT2_EEEvE4typeEPT_PT0_S4_,comdat
	.protected	_Z33head_segmented_warp_reduce_kernelIihLj61ELj61EENSt9enable_ifIXsr10test_utilsE35device_test_enabled_for_warp_size_vIXT2_EEEvE4typeEPT_PT0_S4_ ; -- Begin function _Z33head_segmented_warp_reduce_kernelIihLj61ELj61EENSt9enable_ifIXsr10test_utilsE35device_test_enabled_for_warp_size_vIXT2_EEEvE4typeEPT_PT0_S4_
	.globl	_Z33head_segmented_warp_reduce_kernelIihLj61ELj61EENSt9enable_ifIXsr10test_utilsE35device_test_enabled_for_warp_size_vIXT2_EEEvE4typeEPT_PT0_S4_
	.p2align	8
	.type	_Z33head_segmented_warp_reduce_kernelIihLj61ELj61EENSt9enable_ifIXsr10test_utilsE35device_test_enabled_for_warp_size_vIXT2_EEEvE4typeEPT_PT0_S4_,@function
_Z33head_segmented_warp_reduce_kernelIihLj61ELj61EENSt9enable_ifIXsr10test_utilsE35device_test_enabled_for_warp_size_vIXT2_EEEvE4typeEPT_PT0_S4_: ; @_Z33head_segmented_warp_reduce_kernelIihLj61ELj61EENSt9enable_ifIXsr10test_utilsE35device_test_enabled_for_warp_size_vIXT2_EEEvE4typeEPT_PT0_S4_
; %bb.0:
	s_load_dword s7, s[4:5], 0x24
	s_load_dwordx4 s[0:3], s[4:5], 0x0
	v_mov_b32_e32 v5, 0
	s_waitcnt lgkmcnt(0)
	s_and_b32 s7, s7, 0xffff
	s_mul_i32 s6, s6, s7
	v_add_u32_e32 v4, s6, v0
	global_load_ubyte v8, v4, s[2:3]
	v_lshlrev_b64 v[2:3], 2, v[4:5]
	v_mov_b32_e32 v1, s1
	v_add_co_u32_e32 v4, vcc, s0, v2
	v_addc_co_u32_e32 v5, vcc, v1, v3, vcc
	global_load_dword v1, v[4:5], off
	v_mbcnt_lo_u32_b32 v4, -1, 0
	s_mov_b32 s0, 0x4325c54
	v_mbcnt_hi_u32_b32 v4, -1, v4
	v_mul_hi_u32 v5, v4, s0
	v_mul_u32_u24_e32 v5, 61, v5
	v_mul_u32_u24_e32 v0, 0x433, v0
	v_lshlrev_b64 v[6:7], v4, -1
	v_sub_u32_e32 v4, v4, v5
	s_movk_i32 s1, 0xf4
	v_lshrrev_b32_e32 v0, 16, v0
	v_lshlrev_b32_e32 v9, 2, v4
	v_mad_u32_u24 v0, v0, s1, v9
	s_waitcnt vmcnt(1)
	v_cmp_ne_u16_e32 vcc, 0, v8
	s_lshr_b64 s[0:1], vcc, 1
	v_and_b32_e32 v7, s1, v7
	v_and_b32_e32 v6, s0, v6
	v_lshrrev_b64 v[6:7], v5, v[6:7]
	v_or_b32_e32 v5, 0x10000000, v7
	v_ffbl_b32_e32 v5, v5
	v_ffbl_b32_e32 v6, v6
	v_add_u32_e32 v5, 32, v5
	v_min_u32_e32 v5, v6, v5
	v_cmp_lt_u32_e32 vcc, v4, v5
	s_waitcnt vmcnt(0)
	ds_write_b32 v0, v1
	; wave barrier
	s_and_saveexec_b64 s[0:1], vcc
	s_cbranch_execz .LBB139_2
; %bb.1:
	ds_read_b32 v6, v0 offset:4
	s_waitcnt lgkmcnt(0)
	v_add_u32_e32 v1, v6, v1
.LBB139_2:
	s_or_b64 exec, exec, s[0:1]
	v_add_u32_e32 v6, 2, v4
	v_cmp_le_u32_e32 vcc, v6, v5
	; wave barrier
	ds_write_b32 v0, v1
	; wave barrier
	s_and_saveexec_b64 s[0:1], vcc
	s_cbranch_execz .LBB139_4
; %bb.3:
	ds_read_b32 v6, v0 offset:8
	s_waitcnt lgkmcnt(0)
	v_add_u32_e32 v1, v6, v1
.LBB139_4:
	s_or_b64 exec, exec, s[0:1]
	v_add_u32_e32 v6, 4, v4
	v_cmp_le_u32_e32 vcc, v6, v5
	; wave barrier
	ds_write_b32 v0, v1
	; wave barrier
	s_and_saveexec_b64 s[0:1], vcc
	s_cbranch_execz .LBB139_6
; %bb.5:
	ds_read_b32 v6, v0 offset:16
	s_waitcnt lgkmcnt(0)
	v_add_u32_e32 v1, v6, v1
.LBB139_6:
	s_or_b64 exec, exec, s[0:1]
	s_load_dwordx2 s[0:1], s[4:5], 0x10
	v_add_u32_e32 v6, 8, v4
	v_cmp_le_u32_e32 vcc, v6, v5
	; wave barrier
	ds_write_b32 v0, v1
	; wave barrier
	s_and_saveexec_b64 s[2:3], vcc
	s_cbranch_execz .LBB139_8
; %bb.7:
	ds_read_b32 v6, v0 offset:32
	s_waitcnt lgkmcnt(0)
	v_add_u32_e32 v1, v6, v1
.LBB139_8:
	s_or_b64 exec, exec, s[2:3]
	v_add_u32_e32 v6, 16, v4
	v_cmp_le_u32_e32 vcc, v6, v5
	; wave barrier
	ds_write_b32 v0, v1
	; wave barrier
	s_and_saveexec_b64 s[2:3], vcc
	s_cbranch_execz .LBB139_10
; %bb.9:
	ds_read_b32 v6, v0 offset:64
	s_waitcnt lgkmcnt(0)
	v_add_u32_e32 v1, v6, v1
.LBB139_10:
	s_or_b64 exec, exec, s[2:3]
	;; [unrolled: 13-line block ×3, first 2 shown]
	s_waitcnt lgkmcnt(0)
	v_mov_b32_e32 v0, s1
	v_add_co_u32_e32 v2, vcc, s0, v2
	v_addc_co_u32_e32 v3, vcc, v0, v3, vcc
	; wave barrier
	global_store_dword v[2:3], v1, off
	s_endpgm
	.section	.rodata,"a",@progbits
	.p2align	6, 0x0
	.amdhsa_kernel _Z33head_segmented_warp_reduce_kernelIihLj61ELj61EENSt9enable_ifIXsr10test_utilsE35device_test_enabled_for_warp_size_vIXT2_EEEvE4typeEPT_PT0_S4_
		.amdhsa_group_segment_fixed_size 244
		.amdhsa_private_segment_fixed_size 0
		.amdhsa_kernarg_size 280
		.amdhsa_user_sgpr_count 6
		.amdhsa_user_sgpr_private_segment_buffer 1
		.amdhsa_user_sgpr_dispatch_ptr 0
		.amdhsa_user_sgpr_queue_ptr 0
		.amdhsa_user_sgpr_kernarg_segment_ptr 1
		.amdhsa_user_sgpr_dispatch_id 0
		.amdhsa_user_sgpr_flat_scratch_init 0
		.amdhsa_user_sgpr_kernarg_preload_length 0
		.amdhsa_user_sgpr_kernarg_preload_offset 0
		.amdhsa_user_sgpr_private_segment_size 0
		.amdhsa_uses_dynamic_stack 0
		.amdhsa_system_sgpr_private_segment_wavefront_offset 0
		.amdhsa_system_sgpr_workgroup_id_x 1
		.amdhsa_system_sgpr_workgroup_id_y 0
		.amdhsa_system_sgpr_workgroup_id_z 0
		.amdhsa_system_sgpr_workgroup_info 0
		.amdhsa_system_vgpr_workitem_id 0
		.amdhsa_next_free_vgpr 10
		.amdhsa_next_free_sgpr 8
		.amdhsa_accum_offset 12
		.amdhsa_reserve_vcc 1
		.amdhsa_reserve_flat_scratch 0
		.amdhsa_float_round_mode_32 0
		.amdhsa_float_round_mode_16_64 0
		.amdhsa_float_denorm_mode_32 3
		.amdhsa_float_denorm_mode_16_64 3
		.amdhsa_dx10_clamp 1
		.amdhsa_ieee_mode 1
		.amdhsa_fp16_overflow 0
		.amdhsa_tg_split 0
		.amdhsa_exception_fp_ieee_invalid_op 0
		.amdhsa_exception_fp_denorm_src 0
		.amdhsa_exception_fp_ieee_div_zero 0
		.amdhsa_exception_fp_ieee_overflow 0
		.amdhsa_exception_fp_ieee_underflow 0
		.amdhsa_exception_fp_ieee_inexact 0
		.amdhsa_exception_int_div_zero 0
	.end_amdhsa_kernel
	.section	.text._Z33head_segmented_warp_reduce_kernelIihLj61ELj61EENSt9enable_ifIXsr10test_utilsE35device_test_enabled_for_warp_size_vIXT2_EEEvE4typeEPT_PT0_S4_,"axG",@progbits,_Z33head_segmented_warp_reduce_kernelIihLj61ELj61EENSt9enable_ifIXsr10test_utilsE35device_test_enabled_for_warp_size_vIXT2_EEEvE4typeEPT_PT0_S4_,comdat
.Lfunc_end139:
	.size	_Z33head_segmented_warp_reduce_kernelIihLj61ELj61EENSt9enable_ifIXsr10test_utilsE35device_test_enabled_for_warp_size_vIXT2_EEEvE4typeEPT_PT0_S4_, .Lfunc_end139-_Z33head_segmented_warp_reduce_kernelIihLj61ELj61EENSt9enable_ifIXsr10test_utilsE35device_test_enabled_for_warp_size_vIXT2_EEEvE4typeEPT_PT0_S4_
                                        ; -- End function
	.section	.AMDGPU.csdata,"",@progbits
; Kernel info:
; codeLenInByte = 504
; NumSgprs: 12
; NumVgprs: 10
; NumAgprs: 0
; TotalNumVgprs: 10
; ScratchSize: 0
; MemoryBound: 0
; FloatMode: 240
; IeeeMode: 1
; LDSByteSize: 244 bytes/workgroup (compile time only)
; SGPRBlocks: 1
; VGPRBlocks: 1
; NumSGPRsForWavesPerEU: 12
; NumVGPRsForWavesPerEU: 10
; AccumOffset: 12
; Occupancy: 8
; WaveLimiterHint : 0
; COMPUTE_PGM_RSRC2:SCRATCH_EN: 0
; COMPUTE_PGM_RSRC2:USER_SGPR: 6
; COMPUTE_PGM_RSRC2:TRAP_HANDLER: 0
; COMPUTE_PGM_RSRC2:TGID_X_EN: 1
; COMPUTE_PGM_RSRC2:TGID_Y_EN: 0
; COMPUTE_PGM_RSRC2:TGID_Z_EN: 0
; COMPUTE_PGM_RSRC2:TIDIG_COMP_CNT: 0
; COMPUTE_PGM_RSRC3_GFX90A:ACCUM_OFFSET: 2
; COMPUTE_PGM_RSRC3_GFX90A:TG_SPLIT: 0
	.section	.text._Z33head_segmented_warp_reduce_kernelIihLj1ELj37EENSt9enable_ifIXsr10test_utilsE35device_test_enabled_for_warp_size_vIXT2_EEEvE4typeEPT_PT0_S4_,"axG",@progbits,_Z33head_segmented_warp_reduce_kernelIihLj1ELj37EENSt9enable_ifIXsr10test_utilsE35device_test_enabled_for_warp_size_vIXT2_EEEvE4typeEPT_PT0_S4_,comdat
	.protected	_Z33head_segmented_warp_reduce_kernelIihLj1ELj37EENSt9enable_ifIXsr10test_utilsE35device_test_enabled_for_warp_size_vIXT2_EEEvE4typeEPT_PT0_S4_ ; -- Begin function _Z33head_segmented_warp_reduce_kernelIihLj1ELj37EENSt9enable_ifIXsr10test_utilsE35device_test_enabled_for_warp_size_vIXT2_EEEvE4typeEPT_PT0_S4_
	.globl	_Z33head_segmented_warp_reduce_kernelIihLj1ELj37EENSt9enable_ifIXsr10test_utilsE35device_test_enabled_for_warp_size_vIXT2_EEEvE4typeEPT_PT0_S4_
	.p2align	8
	.type	_Z33head_segmented_warp_reduce_kernelIihLj1ELj37EENSt9enable_ifIXsr10test_utilsE35device_test_enabled_for_warp_size_vIXT2_EEEvE4typeEPT_PT0_S4_,@function
_Z33head_segmented_warp_reduce_kernelIihLj1ELj37EENSt9enable_ifIXsr10test_utilsE35device_test_enabled_for_warp_size_vIXT2_EEEvE4typeEPT_PT0_S4_: ; @_Z33head_segmented_warp_reduce_kernelIihLj1ELj37EENSt9enable_ifIXsr10test_utilsE35device_test_enabled_for_warp_size_vIXT2_EEEvE4typeEPT_PT0_S4_
; %bb.0:
	s_load_dword s0, s[4:5], 0x24
	s_load_dwordx4 s[8:11], s[4:5], 0x0
	s_mov_b32 s1, 0
	s_mov_b32 s2, 0x6eb3e46
	s_waitcnt lgkmcnt(0)
	s_and_b32 s0, s0, 0xffff
	s_mul_i32 s0, s6, s0
	v_mov_b32_e32 v0, s0
	global_load_ubyte v1, v0, s[10:11]
	v_mbcnt_lo_u32_b32 v0, -1, 0
	v_mbcnt_hi_u32_b32 v0, -1, v0
	s_lshl_b64 s[0:1], s[0:1], 2
	v_mul_hi_u32 v4, v0, s2
	s_add_u32 s2, s8, s0
	v_lshlrev_b64 v[2:3], v0, -1
	s_addc_u32 s3, s9, s1
	v_mul_u32_u24_e32 v4, 37, v4
	s_load_dword s2, s[2:3], 0x0
	v_sub_u32_e32 v5, v0, v4
	v_readfirstlane_b32 s6, v5
	v_lshlrev_b32_e32 v0, 2, v5
	s_waitcnt lgkmcnt(0)
	v_mov_b32_e32 v6, s2
	ds_write_b32 v0, v6
	; wave barrier
	s_waitcnt vmcnt(0)
	v_cmp_ne_u16_e32 vcc, 0, v1
	s_lshr_b64 s[8:9], vcc, 1
	v_and_b32_e32 v3, s9, v3
	v_and_b32_e32 v2, s8, v2
	v_lshrrev_b64 v[2:3], v4, v[2:3]
	v_or_b32_e32 v1, 16, v3
	v_ffbl_b32_e32 v1, v1
	v_ffbl_b32_e32 v2, v2
	v_add_u32_e32 v1, 32, v1
	v_min_u32_e32 v1, v2, v1
	v_cmp_ge_u32_e32 vcc, v5, v1
	v_readfirstlane_b32 s7, v1
	s_and_b64 s[8:9], vcc, exec
	s_cbranch_scc1 .LBB140_2
; %bb.1:
	ds_read_b32 v1, v0 offset:4
	s_waitcnt lgkmcnt(0)
	v_add_u32_e32 v1, s2, v1
	s_branch .LBB140_3
.LBB140_2:
	v_mov_b32_e32 v1, s2
.LBB140_3:
	s_add_i32 s2, s6, 2
	s_cmp_gt_u32 s2, s7
	; wave barrier
	ds_write_b32 v0, v1
	; wave barrier
	s_cbranch_scc1 .LBB140_5
; %bb.4:
	ds_read_b32 v2, v0 offset:8
	s_waitcnt lgkmcnt(0)
	v_add_u32_e32 v1, v2, v1
.LBB140_5:
	s_add_i32 s2, s6, 4
	s_cmp_gt_u32 s2, s7
	; wave barrier
	ds_write_b32 v0, v1
	; wave barrier
	s_cbranch_scc1 .LBB140_7
; %bb.6:
	ds_read_b32 v2, v0 offset:16
	s_waitcnt lgkmcnt(0)
	v_add_u32_e32 v1, v2, v1
.LBB140_7:
	s_load_dwordx2 s[2:3], s[4:5], 0x10
	s_add_i32 s4, s6, 8
	s_cmp_gt_u32 s4, s7
	; wave barrier
	ds_write_b32 v0, v1
	; wave barrier
	s_cbranch_scc1 .LBB140_9
; %bb.8:
	ds_read_b32 v2, v0 offset:32
	s_waitcnt lgkmcnt(0)
	v_add_u32_e32 v1, v2, v1
.LBB140_9:
	s_add_i32 s4, s6, 16
	s_cmp_gt_u32 s4, s7
	; wave barrier
	ds_write_b32 v0, v1
	; wave barrier
	s_cbranch_scc1 .LBB140_11
; %bb.10:
	ds_read_b32 v2, v0 offset:64
	s_waitcnt lgkmcnt(0)
	v_add_u32_e32 v1, v2, v1
.LBB140_11:
	;; [unrolled: 11-line block ×3, first 2 shown]
	s_waitcnt lgkmcnt(0)
	s_add_u32 s0, s2, s0
	s_addc_u32 s1, s3, s1
	v_mov_b32_e32 v0, 0
	; wave barrier
	global_store_dword v0, v1, s[0:1]
	s_endpgm
	.section	.rodata,"a",@progbits
	.p2align	6, 0x0
	.amdhsa_kernel _Z33head_segmented_warp_reduce_kernelIihLj1ELj37EENSt9enable_ifIXsr10test_utilsE35device_test_enabled_for_warp_size_vIXT2_EEEvE4typeEPT_PT0_S4_
		.amdhsa_group_segment_fixed_size 148
		.amdhsa_private_segment_fixed_size 0
		.amdhsa_kernarg_size 280
		.amdhsa_user_sgpr_count 6
		.amdhsa_user_sgpr_private_segment_buffer 1
		.amdhsa_user_sgpr_dispatch_ptr 0
		.amdhsa_user_sgpr_queue_ptr 0
		.amdhsa_user_sgpr_kernarg_segment_ptr 1
		.amdhsa_user_sgpr_dispatch_id 0
		.amdhsa_user_sgpr_flat_scratch_init 0
		.amdhsa_user_sgpr_kernarg_preload_length 0
		.amdhsa_user_sgpr_kernarg_preload_offset 0
		.amdhsa_user_sgpr_private_segment_size 0
		.amdhsa_uses_dynamic_stack 0
		.amdhsa_system_sgpr_private_segment_wavefront_offset 0
		.amdhsa_system_sgpr_workgroup_id_x 1
		.amdhsa_system_sgpr_workgroup_id_y 0
		.amdhsa_system_sgpr_workgroup_id_z 0
		.amdhsa_system_sgpr_workgroup_info 0
		.amdhsa_system_vgpr_workitem_id 0
		.amdhsa_next_free_vgpr 7
		.amdhsa_next_free_sgpr 12
		.amdhsa_accum_offset 8
		.amdhsa_reserve_vcc 1
		.amdhsa_reserve_flat_scratch 0
		.amdhsa_float_round_mode_32 0
		.amdhsa_float_round_mode_16_64 0
		.amdhsa_float_denorm_mode_32 3
		.amdhsa_float_denorm_mode_16_64 3
		.amdhsa_dx10_clamp 1
		.amdhsa_ieee_mode 1
		.amdhsa_fp16_overflow 0
		.amdhsa_tg_split 0
		.amdhsa_exception_fp_ieee_invalid_op 0
		.amdhsa_exception_fp_denorm_src 0
		.amdhsa_exception_fp_ieee_div_zero 0
		.amdhsa_exception_fp_ieee_overflow 0
		.amdhsa_exception_fp_ieee_underflow 0
		.amdhsa_exception_fp_ieee_inexact 0
		.amdhsa_exception_int_div_zero 0
	.end_amdhsa_kernel
	.section	.text._Z33head_segmented_warp_reduce_kernelIihLj1ELj37EENSt9enable_ifIXsr10test_utilsE35device_test_enabled_for_warp_size_vIXT2_EEEvE4typeEPT_PT0_S4_,"axG",@progbits,_Z33head_segmented_warp_reduce_kernelIihLj1ELj37EENSt9enable_ifIXsr10test_utilsE35device_test_enabled_for_warp_size_vIXT2_EEEvE4typeEPT_PT0_S4_,comdat
.Lfunc_end140:
	.size	_Z33head_segmented_warp_reduce_kernelIihLj1ELj37EENSt9enable_ifIXsr10test_utilsE35device_test_enabled_for_warp_size_vIXT2_EEEvE4typeEPT_PT0_S4_, .Lfunc_end140-_Z33head_segmented_warp_reduce_kernelIihLj1ELj37EENSt9enable_ifIXsr10test_utilsE35device_test_enabled_for_warp_size_vIXT2_EEEvE4typeEPT_PT0_S4_
                                        ; -- End function
	.section	.AMDGPU.csdata,"",@progbits
; Kernel info:
; codeLenInByte = 444
; NumSgprs: 16
; NumVgprs: 7
; NumAgprs: 0
; TotalNumVgprs: 7
; ScratchSize: 0
; MemoryBound: 0
; FloatMode: 240
; IeeeMode: 1
; LDSByteSize: 148 bytes/workgroup (compile time only)
; SGPRBlocks: 1
; VGPRBlocks: 0
; NumSGPRsForWavesPerEU: 16
; NumVGPRsForWavesPerEU: 7
; AccumOffset: 8
; Occupancy: 8
; WaveLimiterHint : 0
; COMPUTE_PGM_RSRC2:SCRATCH_EN: 0
; COMPUTE_PGM_RSRC2:USER_SGPR: 6
; COMPUTE_PGM_RSRC2:TRAP_HANDLER: 0
; COMPUTE_PGM_RSRC2:TGID_X_EN: 1
; COMPUTE_PGM_RSRC2:TGID_Y_EN: 0
; COMPUTE_PGM_RSRC2:TGID_Z_EN: 0
; COMPUTE_PGM_RSRC2:TIDIG_COMP_CNT: 0
; COMPUTE_PGM_RSRC3_GFX90A:ACCUM_OFFSET: 1
; COMPUTE_PGM_RSRC3_GFX90A:TG_SPLIT: 0
	.section	.text._Z33head_segmented_warp_reduce_kernelIihLj37ELj37EENSt9enable_ifIXsr10test_utilsE35device_test_enabled_for_warp_size_vIXT2_EEEvE4typeEPT_PT0_S4_,"axG",@progbits,_Z33head_segmented_warp_reduce_kernelIihLj37ELj37EENSt9enable_ifIXsr10test_utilsE35device_test_enabled_for_warp_size_vIXT2_EEEvE4typeEPT_PT0_S4_,comdat
	.protected	_Z33head_segmented_warp_reduce_kernelIihLj37ELj37EENSt9enable_ifIXsr10test_utilsE35device_test_enabled_for_warp_size_vIXT2_EEEvE4typeEPT_PT0_S4_ ; -- Begin function _Z33head_segmented_warp_reduce_kernelIihLj37ELj37EENSt9enable_ifIXsr10test_utilsE35device_test_enabled_for_warp_size_vIXT2_EEEvE4typeEPT_PT0_S4_
	.globl	_Z33head_segmented_warp_reduce_kernelIihLj37ELj37EENSt9enable_ifIXsr10test_utilsE35device_test_enabled_for_warp_size_vIXT2_EEEvE4typeEPT_PT0_S4_
	.p2align	8
	.type	_Z33head_segmented_warp_reduce_kernelIihLj37ELj37EENSt9enable_ifIXsr10test_utilsE35device_test_enabled_for_warp_size_vIXT2_EEEvE4typeEPT_PT0_S4_,@function
_Z33head_segmented_warp_reduce_kernelIihLj37ELj37EENSt9enable_ifIXsr10test_utilsE35device_test_enabled_for_warp_size_vIXT2_EEEvE4typeEPT_PT0_S4_: ; @_Z33head_segmented_warp_reduce_kernelIihLj37ELj37EENSt9enable_ifIXsr10test_utilsE35device_test_enabled_for_warp_size_vIXT2_EEEvE4typeEPT_PT0_S4_
; %bb.0:
	s_load_dword s7, s[4:5], 0x24
	s_load_dwordx4 s[0:3], s[4:5], 0x0
	v_mov_b32_e32 v5, 0
	s_waitcnt lgkmcnt(0)
	s_and_b32 s7, s7, 0xffff
	s_mul_i32 s6, s6, s7
	v_add_u32_e32 v4, s6, v0
	global_load_ubyte v8, v4, s[2:3]
	v_lshlrev_b64 v[2:3], 2, v[4:5]
	v_mov_b32_e32 v1, s1
	v_add_co_u32_e32 v4, vcc, s0, v2
	v_addc_co_u32_e32 v5, vcc, v1, v3, vcc
	global_load_dword v1, v[4:5], off
	v_mbcnt_lo_u32_b32 v4, -1, 0
	s_mov_b32 s0, 0x6eb3e46
	v_mbcnt_hi_u32_b32 v4, -1, v4
	v_mul_hi_u32 v5, v4, s0
	v_mul_u32_u24_e32 v5, 37, v5
	v_mul_u32_u24_e32 v0, 0x6ec, v0
	v_lshlrev_b64 v[6:7], v4, -1
	v_sub_u32_e32 v4, v4, v5
	s_movk_i32 s1, 0x94
	v_lshrrev_b32_e32 v0, 16, v0
	v_lshlrev_b32_e32 v9, 2, v4
	v_mad_u32_u24 v0, v0, s1, v9
	s_waitcnt vmcnt(1)
	v_cmp_ne_u16_e32 vcc, 0, v8
	s_lshr_b64 s[0:1], vcc, 1
	v_and_b32_e32 v7, s1, v7
	v_and_b32_e32 v6, s0, v6
	v_lshrrev_b64 v[6:7], v5, v[6:7]
	v_or_b32_e32 v5, 16, v7
	v_ffbl_b32_e32 v5, v5
	v_ffbl_b32_e32 v6, v6
	v_add_u32_e32 v5, 32, v5
	v_min_u32_e32 v5, v6, v5
	v_cmp_lt_u32_e32 vcc, v4, v5
	s_waitcnt vmcnt(0)
	ds_write_b32 v0, v1
	; wave barrier
	s_and_saveexec_b64 s[0:1], vcc
	s_cbranch_execz .LBB141_2
; %bb.1:
	ds_read_b32 v6, v0 offset:4
	s_waitcnt lgkmcnt(0)
	v_add_u32_e32 v1, v6, v1
.LBB141_2:
	s_or_b64 exec, exec, s[0:1]
	v_add_u32_e32 v6, 2, v4
	v_cmp_le_u32_e32 vcc, v6, v5
	; wave barrier
	ds_write_b32 v0, v1
	; wave barrier
	s_and_saveexec_b64 s[0:1], vcc
	s_cbranch_execz .LBB141_4
; %bb.3:
	ds_read_b32 v6, v0 offset:8
	s_waitcnt lgkmcnt(0)
	v_add_u32_e32 v1, v6, v1
.LBB141_4:
	s_or_b64 exec, exec, s[0:1]
	v_add_u32_e32 v6, 4, v4
	v_cmp_le_u32_e32 vcc, v6, v5
	; wave barrier
	ds_write_b32 v0, v1
	; wave barrier
	s_and_saveexec_b64 s[0:1], vcc
	s_cbranch_execz .LBB141_6
; %bb.5:
	ds_read_b32 v6, v0 offset:16
	s_waitcnt lgkmcnt(0)
	v_add_u32_e32 v1, v6, v1
.LBB141_6:
	s_or_b64 exec, exec, s[0:1]
	s_load_dwordx2 s[0:1], s[4:5], 0x10
	v_add_u32_e32 v6, 8, v4
	v_cmp_le_u32_e32 vcc, v6, v5
	; wave barrier
	ds_write_b32 v0, v1
	; wave barrier
	s_and_saveexec_b64 s[2:3], vcc
	s_cbranch_execz .LBB141_8
; %bb.7:
	ds_read_b32 v6, v0 offset:32
	s_waitcnt lgkmcnt(0)
	v_add_u32_e32 v1, v6, v1
.LBB141_8:
	s_or_b64 exec, exec, s[2:3]
	v_add_u32_e32 v6, 16, v4
	v_cmp_le_u32_e32 vcc, v6, v5
	; wave barrier
	ds_write_b32 v0, v1
	; wave barrier
	s_and_saveexec_b64 s[2:3], vcc
	s_cbranch_execz .LBB141_10
; %bb.9:
	ds_read_b32 v6, v0 offset:64
	s_waitcnt lgkmcnt(0)
	v_add_u32_e32 v1, v6, v1
.LBB141_10:
	s_or_b64 exec, exec, s[2:3]
	;; [unrolled: 13-line block ×3, first 2 shown]
	s_waitcnt lgkmcnt(0)
	v_mov_b32_e32 v0, s1
	v_add_co_u32_e32 v2, vcc, s0, v2
	v_addc_co_u32_e32 v3, vcc, v0, v3, vcc
	; wave barrier
	global_store_dword v[2:3], v1, off
	s_endpgm
	.section	.rodata,"a",@progbits
	.p2align	6, 0x0
	.amdhsa_kernel _Z33head_segmented_warp_reduce_kernelIihLj37ELj37EENSt9enable_ifIXsr10test_utilsE35device_test_enabled_for_warp_size_vIXT2_EEEvE4typeEPT_PT0_S4_
		.amdhsa_group_segment_fixed_size 148
		.amdhsa_private_segment_fixed_size 0
		.amdhsa_kernarg_size 280
		.amdhsa_user_sgpr_count 6
		.amdhsa_user_sgpr_private_segment_buffer 1
		.amdhsa_user_sgpr_dispatch_ptr 0
		.amdhsa_user_sgpr_queue_ptr 0
		.amdhsa_user_sgpr_kernarg_segment_ptr 1
		.amdhsa_user_sgpr_dispatch_id 0
		.amdhsa_user_sgpr_flat_scratch_init 0
		.amdhsa_user_sgpr_kernarg_preload_length 0
		.amdhsa_user_sgpr_kernarg_preload_offset 0
		.amdhsa_user_sgpr_private_segment_size 0
		.amdhsa_uses_dynamic_stack 0
		.amdhsa_system_sgpr_private_segment_wavefront_offset 0
		.amdhsa_system_sgpr_workgroup_id_x 1
		.amdhsa_system_sgpr_workgroup_id_y 0
		.amdhsa_system_sgpr_workgroup_id_z 0
		.amdhsa_system_sgpr_workgroup_info 0
		.amdhsa_system_vgpr_workitem_id 0
		.amdhsa_next_free_vgpr 10
		.amdhsa_next_free_sgpr 8
		.amdhsa_accum_offset 12
		.amdhsa_reserve_vcc 1
		.amdhsa_reserve_flat_scratch 0
		.amdhsa_float_round_mode_32 0
		.amdhsa_float_round_mode_16_64 0
		.amdhsa_float_denorm_mode_32 3
		.amdhsa_float_denorm_mode_16_64 3
		.amdhsa_dx10_clamp 1
		.amdhsa_ieee_mode 1
		.amdhsa_fp16_overflow 0
		.amdhsa_tg_split 0
		.amdhsa_exception_fp_ieee_invalid_op 0
		.amdhsa_exception_fp_denorm_src 0
		.amdhsa_exception_fp_ieee_div_zero 0
		.amdhsa_exception_fp_ieee_overflow 0
		.amdhsa_exception_fp_ieee_underflow 0
		.amdhsa_exception_fp_ieee_inexact 0
		.amdhsa_exception_int_div_zero 0
	.end_amdhsa_kernel
	.section	.text._Z33head_segmented_warp_reduce_kernelIihLj37ELj37EENSt9enable_ifIXsr10test_utilsE35device_test_enabled_for_warp_size_vIXT2_EEEvE4typeEPT_PT0_S4_,"axG",@progbits,_Z33head_segmented_warp_reduce_kernelIihLj37ELj37EENSt9enable_ifIXsr10test_utilsE35device_test_enabled_for_warp_size_vIXT2_EEEvE4typeEPT_PT0_S4_,comdat
.Lfunc_end141:
	.size	_Z33head_segmented_warp_reduce_kernelIihLj37ELj37EENSt9enable_ifIXsr10test_utilsE35device_test_enabled_for_warp_size_vIXT2_EEEvE4typeEPT_PT0_S4_, .Lfunc_end141-_Z33head_segmented_warp_reduce_kernelIihLj37ELj37EENSt9enable_ifIXsr10test_utilsE35device_test_enabled_for_warp_size_vIXT2_EEEvE4typeEPT_PT0_S4_
                                        ; -- End function
	.section	.AMDGPU.csdata,"",@progbits
; Kernel info:
; codeLenInByte = 500
; NumSgprs: 12
; NumVgprs: 10
; NumAgprs: 0
; TotalNumVgprs: 10
; ScratchSize: 0
; MemoryBound: 0
; FloatMode: 240
; IeeeMode: 1
; LDSByteSize: 148 bytes/workgroup (compile time only)
; SGPRBlocks: 1
; VGPRBlocks: 1
; NumSGPRsForWavesPerEU: 12
; NumVGPRsForWavesPerEU: 10
; AccumOffset: 12
; Occupancy: 8
; WaveLimiterHint : 0
; COMPUTE_PGM_RSRC2:SCRATCH_EN: 0
; COMPUTE_PGM_RSRC2:USER_SGPR: 6
; COMPUTE_PGM_RSRC2:TRAP_HANDLER: 0
; COMPUTE_PGM_RSRC2:TGID_X_EN: 1
; COMPUTE_PGM_RSRC2:TGID_Y_EN: 0
; COMPUTE_PGM_RSRC2:TGID_Z_EN: 0
; COMPUTE_PGM_RSRC2:TIDIG_COMP_CNT: 0
; COMPUTE_PGM_RSRC3_GFX90A:ACCUM_OFFSET: 2
; COMPUTE_PGM_RSRC3_GFX90A:TG_SPLIT: 0
	.section	.text._Z33head_segmented_warp_reduce_kernelIihLj30ELj15EENSt9enable_ifIXsr10test_utilsE35device_test_enabled_for_warp_size_vIXT2_EEEvE4typeEPT_PT0_S4_,"axG",@progbits,_Z33head_segmented_warp_reduce_kernelIihLj30ELj15EENSt9enable_ifIXsr10test_utilsE35device_test_enabled_for_warp_size_vIXT2_EEEvE4typeEPT_PT0_S4_,comdat
	.protected	_Z33head_segmented_warp_reduce_kernelIihLj30ELj15EENSt9enable_ifIXsr10test_utilsE35device_test_enabled_for_warp_size_vIXT2_EEEvE4typeEPT_PT0_S4_ ; -- Begin function _Z33head_segmented_warp_reduce_kernelIihLj30ELj15EENSt9enable_ifIXsr10test_utilsE35device_test_enabled_for_warp_size_vIXT2_EEEvE4typeEPT_PT0_S4_
	.globl	_Z33head_segmented_warp_reduce_kernelIihLj30ELj15EENSt9enable_ifIXsr10test_utilsE35device_test_enabled_for_warp_size_vIXT2_EEEvE4typeEPT_PT0_S4_
	.p2align	8
	.type	_Z33head_segmented_warp_reduce_kernelIihLj30ELj15EENSt9enable_ifIXsr10test_utilsE35device_test_enabled_for_warp_size_vIXT2_EEEvE4typeEPT_PT0_S4_,@function
_Z33head_segmented_warp_reduce_kernelIihLj30ELj15EENSt9enable_ifIXsr10test_utilsE35device_test_enabled_for_warp_size_vIXT2_EEEvE4typeEPT_PT0_S4_: ; @_Z33head_segmented_warp_reduce_kernelIihLj30ELj15EENSt9enable_ifIXsr10test_utilsE35device_test_enabled_for_warp_size_vIXT2_EEEvE4typeEPT_PT0_S4_
; %bb.0:
	s_load_dword s7, s[4:5], 0x24
	s_load_dwordx4 s[0:3], s[4:5], 0x0
	v_mov_b32_e32 v5, 0
	s_waitcnt lgkmcnt(0)
	s_and_b32 s7, s7, 0xffff
	s_mul_i32 s6, s6, s7
	v_add_u32_e32 v4, s6, v0
	global_load_ubyte v8, v4, s[2:3]
	v_lshlrev_b64 v[2:3], 2, v[4:5]
	v_mov_b32_e32 v1, s1
	v_add_co_u32_e32 v4, vcc, s0, v2
	v_addc_co_u32_e32 v5, vcc, v1, v3, vcc
	global_load_dword v1, v[4:5], off
	v_mbcnt_lo_u32_b32 v4, -1, 0
	s_mov_b32 s0, 0x11111112
	v_mul_u32_u24_e32 v0, 0x1112, v0
	v_mbcnt_hi_u32_b32 v4, -1, v4
	v_lshrrev_b32_e32 v5, 16, v0
	v_mul_hi_u32 v0, v4, s0
	v_lshlrev_b64 v[6:7], v4, -1
	v_mul_u32_u24_e32 v9, 15, v0
	v_sub_u32_e32 v0, v4, v9
	v_lshlrev_b32_e32 v4, 2, v0
	v_mad_u32_u24 v4, v5, 60, v4
	s_waitcnt vmcnt(1)
	v_cmp_ne_u16_e32 vcc, 0, v8
	s_lshr_b64 s[0:1], vcc, 1
	v_and_b32_e32 v7, s1, v7
	v_and_b32_e32 v6, s0, v6
	v_lshrrev_b64 v[6:7], v9, v[6:7]
	v_or_b32_e32 v5, 0x4000, v6
	v_ffbl_b32_e32 v6, v7
	v_add_u32_e32 v6, 32, v6
	v_ffbl_b32_e32 v5, v5
	v_min_u32_e32 v5, v5, v6
	v_cmp_lt_u32_e32 vcc, v0, v5
	s_waitcnt vmcnt(0)
	ds_write_b32 v4, v1
	; wave barrier
	s_and_saveexec_b64 s[0:1], vcc
	s_cbranch_execz .LBB142_2
; %bb.1:
	ds_read_b32 v6, v4 offset:4
	s_waitcnt lgkmcnt(0)
	v_add_u32_e32 v1, v6, v1
.LBB142_2:
	s_or_b64 exec, exec, s[0:1]
	s_load_dwordx2 s[0:1], s[4:5], 0x10
	v_add_u32_e32 v6, 2, v0
	v_cmp_le_u32_e32 vcc, v6, v5
	; wave barrier
	ds_write_b32 v4, v1
	; wave barrier
	s_and_saveexec_b64 s[2:3], vcc
	s_cbranch_execz .LBB142_4
; %bb.3:
	ds_read_b32 v6, v4 offset:8
	s_waitcnt lgkmcnt(0)
	v_add_u32_e32 v1, v6, v1
.LBB142_4:
	s_or_b64 exec, exec, s[2:3]
	v_add_u32_e32 v6, 4, v0
	v_cmp_le_u32_e32 vcc, v6, v5
	; wave barrier
	ds_write_b32 v4, v1
	; wave barrier
	s_and_saveexec_b64 s[2:3], vcc
	s_cbranch_execz .LBB142_6
; %bb.5:
	ds_read_b32 v6, v4 offset:16
	s_waitcnt lgkmcnt(0)
	v_add_u32_e32 v1, v6, v1
.LBB142_6:
	s_or_b64 exec, exec, s[2:3]
	;; [unrolled: 13-line block ×3, first 2 shown]
	s_waitcnt lgkmcnt(0)
	v_mov_b32_e32 v0, s1
	v_add_co_u32_e32 v2, vcc, s0, v2
	v_addc_co_u32_e32 v3, vcc, v0, v3, vcc
	; wave barrier
	global_store_dword v[2:3], v1, off
	s_endpgm
	.section	.rodata,"a",@progbits
	.p2align	6, 0x0
	.amdhsa_kernel _Z33head_segmented_warp_reduce_kernelIihLj30ELj15EENSt9enable_ifIXsr10test_utilsE35device_test_enabled_for_warp_size_vIXT2_EEEvE4typeEPT_PT0_S4_
		.amdhsa_group_segment_fixed_size 120
		.amdhsa_private_segment_fixed_size 0
		.amdhsa_kernarg_size 280
		.amdhsa_user_sgpr_count 6
		.amdhsa_user_sgpr_private_segment_buffer 1
		.amdhsa_user_sgpr_dispatch_ptr 0
		.amdhsa_user_sgpr_queue_ptr 0
		.amdhsa_user_sgpr_kernarg_segment_ptr 1
		.amdhsa_user_sgpr_dispatch_id 0
		.amdhsa_user_sgpr_flat_scratch_init 0
		.amdhsa_user_sgpr_kernarg_preload_length 0
		.amdhsa_user_sgpr_kernarg_preload_offset 0
		.amdhsa_user_sgpr_private_segment_size 0
		.amdhsa_uses_dynamic_stack 0
		.amdhsa_system_sgpr_private_segment_wavefront_offset 0
		.amdhsa_system_sgpr_workgroup_id_x 1
		.amdhsa_system_sgpr_workgroup_id_y 0
		.amdhsa_system_sgpr_workgroup_id_z 0
		.amdhsa_system_sgpr_workgroup_info 0
		.amdhsa_system_vgpr_workitem_id 0
		.amdhsa_next_free_vgpr 10
		.amdhsa_next_free_sgpr 8
		.amdhsa_accum_offset 12
		.amdhsa_reserve_vcc 1
		.amdhsa_reserve_flat_scratch 0
		.amdhsa_float_round_mode_32 0
		.amdhsa_float_round_mode_16_64 0
		.amdhsa_float_denorm_mode_32 3
		.amdhsa_float_denorm_mode_16_64 3
		.amdhsa_dx10_clamp 1
		.amdhsa_ieee_mode 1
		.amdhsa_fp16_overflow 0
		.amdhsa_tg_split 0
		.amdhsa_exception_fp_ieee_invalid_op 0
		.amdhsa_exception_fp_denorm_src 0
		.amdhsa_exception_fp_ieee_div_zero 0
		.amdhsa_exception_fp_ieee_overflow 0
		.amdhsa_exception_fp_ieee_underflow 0
		.amdhsa_exception_fp_ieee_inexact 0
		.amdhsa_exception_int_div_zero 0
	.end_amdhsa_kernel
	.section	.text._Z33head_segmented_warp_reduce_kernelIihLj30ELj15EENSt9enable_ifIXsr10test_utilsE35device_test_enabled_for_warp_size_vIXT2_EEEvE4typeEPT_PT0_S4_,"axG",@progbits,_Z33head_segmented_warp_reduce_kernelIihLj30ELj15EENSt9enable_ifIXsr10test_utilsE35device_test_enabled_for_warp_size_vIXT2_EEEvE4typeEPT_PT0_S4_,comdat
.Lfunc_end142:
	.size	_Z33head_segmented_warp_reduce_kernelIihLj30ELj15EENSt9enable_ifIXsr10test_utilsE35device_test_enabled_for_warp_size_vIXT2_EEEvE4typeEPT_PT0_S4_, .Lfunc_end142-_Z33head_segmented_warp_reduce_kernelIihLj30ELj15EENSt9enable_ifIXsr10test_utilsE35device_test_enabled_for_warp_size_vIXT2_EEEvE4typeEPT_PT0_S4_
                                        ; -- End function
	.section	.AMDGPU.csdata,"",@progbits
; Kernel info:
; codeLenInByte = 412
; NumSgprs: 12
; NumVgprs: 10
; NumAgprs: 0
; TotalNumVgprs: 10
; ScratchSize: 0
; MemoryBound: 0
; FloatMode: 240
; IeeeMode: 1
; LDSByteSize: 120 bytes/workgroup (compile time only)
; SGPRBlocks: 1
; VGPRBlocks: 1
; NumSGPRsForWavesPerEU: 12
; NumVGPRsForWavesPerEU: 10
; AccumOffset: 12
; Occupancy: 8
; WaveLimiterHint : 0
; COMPUTE_PGM_RSRC2:SCRATCH_EN: 0
; COMPUTE_PGM_RSRC2:USER_SGPR: 6
; COMPUTE_PGM_RSRC2:TRAP_HANDLER: 0
; COMPUTE_PGM_RSRC2:TGID_X_EN: 1
; COMPUTE_PGM_RSRC2:TGID_Y_EN: 0
; COMPUTE_PGM_RSRC2:TGID_Z_EN: 0
; COMPUTE_PGM_RSRC2:TIDIG_COMP_CNT: 0
; COMPUTE_PGM_RSRC3_GFX90A:ACCUM_OFFSET: 2
; COMPUTE_PGM_RSRC3_GFX90A:TG_SPLIT: 0
	.section	.text._Z33head_segmented_warp_reduce_kernelIihLj60ELj15EENSt9enable_ifIXsr10test_utilsE35device_test_enabled_for_warp_size_vIXT2_EEEvE4typeEPT_PT0_S4_,"axG",@progbits,_Z33head_segmented_warp_reduce_kernelIihLj60ELj15EENSt9enable_ifIXsr10test_utilsE35device_test_enabled_for_warp_size_vIXT2_EEEvE4typeEPT_PT0_S4_,comdat
	.protected	_Z33head_segmented_warp_reduce_kernelIihLj60ELj15EENSt9enable_ifIXsr10test_utilsE35device_test_enabled_for_warp_size_vIXT2_EEEvE4typeEPT_PT0_S4_ ; -- Begin function _Z33head_segmented_warp_reduce_kernelIihLj60ELj15EENSt9enable_ifIXsr10test_utilsE35device_test_enabled_for_warp_size_vIXT2_EEEvE4typeEPT_PT0_S4_
	.globl	_Z33head_segmented_warp_reduce_kernelIihLj60ELj15EENSt9enable_ifIXsr10test_utilsE35device_test_enabled_for_warp_size_vIXT2_EEEvE4typeEPT_PT0_S4_
	.p2align	8
	.type	_Z33head_segmented_warp_reduce_kernelIihLj60ELj15EENSt9enable_ifIXsr10test_utilsE35device_test_enabled_for_warp_size_vIXT2_EEEvE4typeEPT_PT0_S4_,@function
_Z33head_segmented_warp_reduce_kernelIihLj60ELj15EENSt9enable_ifIXsr10test_utilsE35device_test_enabled_for_warp_size_vIXT2_EEEvE4typeEPT_PT0_S4_: ; @_Z33head_segmented_warp_reduce_kernelIihLj60ELj15EENSt9enable_ifIXsr10test_utilsE35device_test_enabled_for_warp_size_vIXT2_EEEvE4typeEPT_PT0_S4_
; %bb.0:
	s_load_dword s7, s[4:5], 0x24
	s_load_dwordx4 s[0:3], s[4:5], 0x0
	v_mov_b32_e32 v5, 0
	s_waitcnt lgkmcnt(0)
	s_and_b32 s7, s7, 0xffff
	s_mul_i32 s6, s6, s7
	v_add_u32_e32 v4, s6, v0
	global_load_ubyte v8, v4, s[2:3]
	v_lshlrev_b64 v[2:3], 2, v[4:5]
	v_mov_b32_e32 v1, s1
	v_add_co_u32_e32 v4, vcc, s0, v2
	v_addc_co_u32_e32 v5, vcc, v1, v3, vcc
	global_load_dword v1, v[4:5], off
	v_mbcnt_lo_u32_b32 v4, -1, 0
	s_mov_b32 s0, 0x11111112
	v_mul_u32_u24_e32 v0, 0x1112, v0
	v_mbcnt_hi_u32_b32 v4, -1, v4
	v_lshrrev_b32_e32 v5, 16, v0
	v_mul_hi_u32 v0, v4, s0
	v_lshlrev_b64 v[6:7], v4, -1
	v_mul_u32_u24_e32 v9, 15, v0
	v_sub_u32_e32 v0, v4, v9
	v_lshlrev_b32_e32 v4, 2, v0
	v_mad_u32_u24 v4, v5, 60, v4
	s_waitcnt vmcnt(1)
	v_cmp_ne_u16_e32 vcc, 0, v8
	s_lshr_b64 s[0:1], vcc, 1
	v_and_b32_e32 v7, s1, v7
	v_and_b32_e32 v6, s0, v6
	v_lshrrev_b64 v[6:7], v9, v[6:7]
	v_or_b32_e32 v5, 0x4000, v6
	v_ffbl_b32_e32 v6, v7
	v_add_u32_e32 v6, 32, v6
	v_ffbl_b32_e32 v5, v5
	v_min_u32_e32 v5, v5, v6
	v_cmp_lt_u32_e32 vcc, v0, v5
	s_waitcnt vmcnt(0)
	ds_write_b32 v4, v1
	; wave barrier
	s_and_saveexec_b64 s[0:1], vcc
	s_cbranch_execz .LBB143_2
; %bb.1:
	ds_read_b32 v6, v4 offset:4
	s_waitcnt lgkmcnt(0)
	v_add_u32_e32 v1, v6, v1
.LBB143_2:
	s_or_b64 exec, exec, s[0:1]
	s_load_dwordx2 s[0:1], s[4:5], 0x10
	v_add_u32_e32 v6, 2, v0
	v_cmp_le_u32_e32 vcc, v6, v5
	; wave barrier
	ds_write_b32 v4, v1
	; wave barrier
	s_and_saveexec_b64 s[2:3], vcc
	s_cbranch_execz .LBB143_4
; %bb.3:
	ds_read_b32 v6, v4 offset:8
	s_waitcnt lgkmcnt(0)
	v_add_u32_e32 v1, v6, v1
.LBB143_4:
	s_or_b64 exec, exec, s[2:3]
	v_add_u32_e32 v6, 4, v0
	v_cmp_le_u32_e32 vcc, v6, v5
	; wave barrier
	ds_write_b32 v4, v1
	; wave barrier
	s_and_saveexec_b64 s[2:3], vcc
	s_cbranch_execz .LBB143_6
; %bb.5:
	ds_read_b32 v6, v4 offset:16
	s_waitcnt lgkmcnt(0)
	v_add_u32_e32 v1, v6, v1
.LBB143_6:
	s_or_b64 exec, exec, s[2:3]
	;; [unrolled: 13-line block ×3, first 2 shown]
	s_waitcnt lgkmcnt(0)
	v_mov_b32_e32 v0, s1
	v_add_co_u32_e32 v2, vcc, s0, v2
	v_addc_co_u32_e32 v3, vcc, v0, v3, vcc
	; wave barrier
	global_store_dword v[2:3], v1, off
	s_endpgm
	.section	.rodata,"a",@progbits
	.p2align	6, 0x0
	.amdhsa_kernel _Z33head_segmented_warp_reduce_kernelIihLj60ELj15EENSt9enable_ifIXsr10test_utilsE35device_test_enabled_for_warp_size_vIXT2_EEEvE4typeEPT_PT0_S4_
		.amdhsa_group_segment_fixed_size 240
		.amdhsa_private_segment_fixed_size 0
		.amdhsa_kernarg_size 280
		.amdhsa_user_sgpr_count 6
		.amdhsa_user_sgpr_private_segment_buffer 1
		.amdhsa_user_sgpr_dispatch_ptr 0
		.amdhsa_user_sgpr_queue_ptr 0
		.amdhsa_user_sgpr_kernarg_segment_ptr 1
		.amdhsa_user_sgpr_dispatch_id 0
		.amdhsa_user_sgpr_flat_scratch_init 0
		.amdhsa_user_sgpr_kernarg_preload_length 0
		.amdhsa_user_sgpr_kernarg_preload_offset 0
		.amdhsa_user_sgpr_private_segment_size 0
		.amdhsa_uses_dynamic_stack 0
		.amdhsa_system_sgpr_private_segment_wavefront_offset 0
		.amdhsa_system_sgpr_workgroup_id_x 1
		.amdhsa_system_sgpr_workgroup_id_y 0
		.amdhsa_system_sgpr_workgroup_id_z 0
		.amdhsa_system_sgpr_workgroup_info 0
		.amdhsa_system_vgpr_workitem_id 0
		.amdhsa_next_free_vgpr 10
		.amdhsa_next_free_sgpr 8
		.amdhsa_accum_offset 12
		.amdhsa_reserve_vcc 1
		.amdhsa_reserve_flat_scratch 0
		.amdhsa_float_round_mode_32 0
		.amdhsa_float_round_mode_16_64 0
		.amdhsa_float_denorm_mode_32 3
		.amdhsa_float_denorm_mode_16_64 3
		.amdhsa_dx10_clamp 1
		.amdhsa_ieee_mode 1
		.amdhsa_fp16_overflow 0
		.amdhsa_tg_split 0
		.amdhsa_exception_fp_ieee_invalid_op 0
		.amdhsa_exception_fp_denorm_src 0
		.amdhsa_exception_fp_ieee_div_zero 0
		.amdhsa_exception_fp_ieee_overflow 0
		.amdhsa_exception_fp_ieee_underflow 0
		.amdhsa_exception_fp_ieee_inexact 0
		.amdhsa_exception_int_div_zero 0
	.end_amdhsa_kernel
	.section	.text._Z33head_segmented_warp_reduce_kernelIihLj60ELj15EENSt9enable_ifIXsr10test_utilsE35device_test_enabled_for_warp_size_vIXT2_EEEvE4typeEPT_PT0_S4_,"axG",@progbits,_Z33head_segmented_warp_reduce_kernelIihLj60ELj15EENSt9enable_ifIXsr10test_utilsE35device_test_enabled_for_warp_size_vIXT2_EEEvE4typeEPT_PT0_S4_,comdat
.Lfunc_end143:
	.size	_Z33head_segmented_warp_reduce_kernelIihLj60ELj15EENSt9enable_ifIXsr10test_utilsE35device_test_enabled_for_warp_size_vIXT2_EEEvE4typeEPT_PT0_S4_, .Lfunc_end143-_Z33head_segmented_warp_reduce_kernelIihLj60ELj15EENSt9enable_ifIXsr10test_utilsE35device_test_enabled_for_warp_size_vIXT2_EEEvE4typeEPT_PT0_S4_
                                        ; -- End function
	.section	.AMDGPU.csdata,"",@progbits
; Kernel info:
; codeLenInByte = 412
; NumSgprs: 12
; NumVgprs: 10
; NumAgprs: 0
; TotalNumVgprs: 10
; ScratchSize: 0
; MemoryBound: 0
; FloatMode: 240
; IeeeMode: 1
; LDSByteSize: 240 bytes/workgroup (compile time only)
; SGPRBlocks: 1
; VGPRBlocks: 1
; NumSGPRsForWavesPerEU: 12
; NumVGPRsForWavesPerEU: 10
; AccumOffset: 12
; Occupancy: 8
; WaveLimiterHint : 0
; COMPUTE_PGM_RSRC2:SCRATCH_EN: 0
; COMPUTE_PGM_RSRC2:USER_SGPR: 6
; COMPUTE_PGM_RSRC2:TRAP_HANDLER: 0
; COMPUTE_PGM_RSRC2:TGID_X_EN: 1
; COMPUTE_PGM_RSRC2:TGID_Y_EN: 0
; COMPUTE_PGM_RSRC2:TGID_Z_EN: 0
; COMPUTE_PGM_RSRC2:TIDIG_COMP_CNT: 0
; COMPUTE_PGM_RSRC3_GFX90A:ACCUM_OFFSET: 2
; COMPUTE_PGM_RSRC3_GFX90A:TG_SPLIT: 0
	.section	.text._Z33head_segmented_warp_reduce_kernelIihLj28ELj7EENSt9enable_ifIXsr10test_utilsE35device_test_enabled_for_warp_size_vIXT2_EEEvE4typeEPT_PT0_S4_,"axG",@progbits,_Z33head_segmented_warp_reduce_kernelIihLj28ELj7EENSt9enable_ifIXsr10test_utilsE35device_test_enabled_for_warp_size_vIXT2_EEEvE4typeEPT_PT0_S4_,comdat
	.protected	_Z33head_segmented_warp_reduce_kernelIihLj28ELj7EENSt9enable_ifIXsr10test_utilsE35device_test_enabled_for_warp_size_vIXT2_EEEvE4typeEPT_PT0_S4_ ; -- Begin function _Z33head_segmented_warp_reduce_kernelIihLj28ELj7EENSt9enable_ifIXsr10test_utilsE35device_test_enabled_for_warp_size_vIXT2_EEEvE4typeEPT_PT0_S4_
	.globl	_Z33head_segmented_warp_reduce_kernelIihLj28ELj7EENSt9enable_ifIXsr10test_utilsE35device_test_enabled_for_warp_size_vIXT2_EEEvE4typeEPT_PT0_S4_
	.p2align	8
	.type	_Z33head_segmented_warp_reduce_kernelIihLj28ELj7EENSt9enable_ifIXsr10test_utilsE35device_test_enabled_for_warp_size_vIXT2_EEEvE4typeEPT_PT0_S4_,@function
_Z33head_segmented_warp_reduce_kernelIihLj28ELj7EENSt9enable_ifIXsr10test_utilsE35device_test_enabled_for_warp_size_vIXT2_EEEvE4typeEPT_PT0_S4_: ; @_Z33head_segmented_warp_reduce_kernelIihLj28ELj7EENSt9enable_ifIXsr10test_utilsE35device_test_enabled_for_warp_size_vIXT2_EEEvE4typeEPT_PT0_S4_
; %bb.0:
	s_load_dword s2, s[4:5], 0x24
	s_load_dwordx4 s[8:11], s[4:5], 0x0
	s_load_dwordx2 s[0:1], s[4:5], 0x10
	v_mov_b32_e32 v5, 0
	s_waitcnt lgkmcnt(0)
	s_and_b32 s2, s2, 0xffff
	s_mul_i32 s6, s6, s2
	v_add_u32_e32 v4, s6, v0
	global_load_ubyte v8, v4, s[10:11]
	v_lshlrev_b64 v[2:3], 2, v[4:5]
	v_mov_b32_e32 v1, s9
	v_add_co_u32_e32 v4, vcc, s8, v2
	v_addc_co_u32_e32 v5, vcc, v1, v3, vcc
	global_load_dword v1, v[4:5], off
	v_mbcnt_lo_u32_b32 v4, -1, 0
	s_mov_b32 s2, 0x24924925
	v_mul_u32_u24_e32 v0, 0x2493, v0
	v_mbcnt_hi_u32_b32 v4, -1, v4
	v_lshrrev_b32_e32 v5, 16, v0
	v_mul_hi_u32 v0, v4, s2
	v_lshlrev_b64 v[6:7], v4, -1
	v_mul_u32_u24_e32 v9, 7, v0
	v_sub_u32_e32 v0, v4, v9
	v_lshlrev_b32_e32 v4, 2, v0
	v_mad_u32_u24 v4, v5, 28, v4
	s_waitcnt vmcnt(1)
	v_cmp_ne_u16_e32 vcc, 0, v8
	s_lshr_b64 s[2:3], vcc, 1
	v_and_b32_e32 v7, s3, v7
	v_and_b32_e32 v6, s2, v6
	v_lshrrev_b64 v[6:7], v9, v[6:7]
	v_or_b32_e32 v5, 64, v6
	v_ffbl_b32_e32 v6, v7
	v_add_u32_e32 v6, 32, v6
	v_ffbl_b32_e32 v5, v5
	v_min_u32_e32 v5, v5, v6
	v_cmp_lt_u32_e32 vcc, v0, v5
	s_waitcnt vmcnt(0)
	ds_write_b32 v4, v1
	; wave barrier
	s_and_saveexec_b64 s[2:3], vcc
	s_cbranch_execz .LBB144_2
; %bb.1:
	ds_read_b32 v6, v4 offset:4
	s_waitcnt lgkmcnt(0)
	v_add_u32_e32 v1, v6, v1
.LBB144_2:
	s_or_b64 exec, exec, s[2:3]
	v_add_u32_e32 v6, 2, v0
	v_cmp_le_u32_e32 vcc, v6, v5
	; wave barrier
	ds_write_b32 v4, v1
	; wave barrier
	s_and_saveexec_b64 s[2:3], vcc
	s_cbranch_execz .LBB144_4
; %bb.3:
	ds_read_b32 v6, v4 offset:8
	s_waitcnt lgkmcnt(0)
	v_add_u32_e32 v1, v6, v1
.LBB144_4:
	s_or_b64 exec, exec, s[2:3]
	v_add_u32_e32 v0, 4, v0
	v_cmp_le_u32_e32 vcc, v0, v5
	; wave barrier
	ds_write_b32 v4, v1
	; wave barrier
	s_and_saveexec_b64 s[2:3], vcc
	s_cbranch_execz .LBB144_6
; %bb.5:
	ds_read_b32 v0, v4 offset:16
	s_waitcnt lgkmcnt(0)
	v_add_u32_e32 v1, v0, v1
.LBB144_6:
	s_or_b64 exec, exec, s[2:3]
	v_mov_b32_e32 v0, s1
	v_add_co_u32_e32 v2, vcc, s0, v2
	v_addc_co_u32_e32 v3, vcc, v0, v3, vcc
	; wave barrier
	global_store_dword v[2:3], v1, off
	s_endpgm
	.section	.rodata,"a",@progbits
	.p2align	6, 0x0
	.amdhsa_kernel _Z33head_segmented_warp_reduce_kernelIihLj28ELj7EENSt9enable_ifIXsr10test_utilsE35device_test_enabled_for_warp_size_vIXT2_EEEvE4typeEPT_PT0_S4_
		.amdhsa_group_segment_fixed_size 112
		.amdhsa_private_segment_fixed_size 0
		.amdhsa_kernarg_size 280
		.amdhsa_user_sgpr_count 6
		.amdhsa_user_sgpr_private_segment_buffer 1
		.amdhsa_user_sgpr_dispatch_ptr 0
		.amdhsa_user_sgpr_queue_ptr 0
		.amdhsa_user_sgpr_kernarg_segment_ptr 1
		.amdhsa_user_sgpr_dispatch_id 0
		.amdhsa_user_sgpr_flat_scratch_init 0
		.amdhsa_user_sgpr_kernarg_preload_length 0
		.amdhsa_user_sgpr_kernarg_preload_offset 0
		.amdhsa_user_sgpr_private_segment_size 0
		.amdhsa_uses_dynamic_stack 0
		.amdhsa_system_sgpr_private_segment_wavefront_offset 0
		.amdhsa_system_sgpr_workgroup_id_x 1
		.amdhsa_system_sgpr_workgroup_id_y 0
		.amdhsa_system_sgpr_workgroup_id_z 0
		.amdhsa_system_sgpr_workgroup_info 0
		.amdhsa_system_vgpr_workitem_id 0
		.amdhsa_next_free_vgpr 10
		.amdhsa_next_free_sgpr 12
		.amdhsa_accum_offset 12
		.amdhsa_reserve_vcc 1
		.amdhsa_reserve_flat_scratch 0
		.amdhsa_float_round_mode_32 0
		.amdhsa_float_round_mode_16_64 0
		.amdhsa_float_denorm_mode_32 3
		.amdhsa_float_denorm_mode_16_64 3
		.amdhsa_dx10_clamp 1
		.amdhsa_ieee_mode 1
		.amdhsa_fp16_overflow 0
		.amdhsa_tg_split 0
		.amdhsa_exception_fp_ieee_invalid_op 0
		.amdhsa_exception_fp_denorm_src 0
		.amdhsa_exception_fp_ieee_div_zero 0
		.amdhsa_exception_fp_ieee_overflow 0
		.amdhsa_exception_fp_ieee_underflow 0
		.amdhsa_exception_fp_ieee_inexact 0
		.amdhsa_exception_int_div_zero 0
	.end_amdhsa_kernel
	.section	.text._Z33head_segmented_warp_reduce_kernelIihLj28ELj7EENSt9enable_ifIXsr10test_utilsE35device_test_enabled_for_warp_size_vIXT2_EEEvE4typeEPT_PT0_S4_,"axG",@progbits,_Z33head_segmented_warp_reduce_kernelIihLj28ELj7EENSt9enable_ifIXsr10test_utilsE35device_test_enabled_for_warp_size_vIXT2_EEEvE4typeEPT_PT0_S4_,comdat
.Lfunc_end144:
	.size	_Z33head_segmented_warp_reduce_kernelIihLj28ELj7EENSt9enable_ifIXsr10test_utilsE35device_test_enabled_for_warp_size_vIXT2_EEEvE4typeEPT_PT0_S4_, .Lfunc_end144-_Z33head_segmented_warp_reduce_kernelIihLj28ELj7EENSt9enable_ifIXsr10test_utilsE35device_test_enabled_for_warp_size_vIXT2_EEEvE4typeEPT_PT0_S4_
                                        ; -- End function
	.section	.AMDGPU.csdata,"",@progbits
; Kernel info:
; codeLenInByte = 360
; NumSgprs: 16
; NumVgprs: 10
; NumAgprs: 0
; TotalNumVgprs: 10
; ScratchSize: 0
; MemoryBound: 0
; FloatMode: 240
; IeeeMode: 1
; LDSByteSize: 112 bytes/workgroup (compile time only)
; SGPRBlocks: 1
; VGPRBlocks: 1
; NumSGPRsForWavesPerEU: 16
; NumVGPRsForWavesPerEU: 10
; AccumOffset: 12
; Occupancy: 8
; WaveLimiterHint : 0
; COMPUTE_PGM_RSRC2:SCRATCH_EN: 0
; COMPUTE_PGM_RSRC2:USER_SGPR: 6
; COMPUTE_PGM_RSRC2:TRAP_HANDLER: 0
; COMPUTE_PGM_RSRC2:TGID_X_EN: 1
; COMPUTE_PGM_RSRC2:TGID_Y_EN: 0
; COMPUTE_PGM_RSRC2:TGID_Z_EN: 0
; COMPUTE_PGM_RSRC2:TIDIG_COMP_CNT: 0
; COMPUTE_PGM_RSRC3_GFX90A:ACCUM_OFFSET: 2
; COMPUTE_PGM_RSRC3_GFX90A:TG_SPLIT: 0
	.section	.text._Z33head_segmented_warp_reduce_kernelIihLj63ELj7EENSt9enable_ifIXsr10test_utilsE35device_test_enabled_for_warp_size_vIXT2_EEEvE4typeEPT_PT0_S4_,"axG",@progbits,_Z33head_segmented_warp_reduce_kernelIihLj63ELj7EENSt9enable_ifIXsr10test_utilsE35device_test_enabled_for_warp_size_vIXT2_EEEvE4typeEPT_PT0_S4_,comdat
	.protected	_Z33head_segmented_warp_reduce_kernelIihLj63ELj7EENSt9enable_ifIXsr10test_utilsE35device_test_enabled_for_warp_size_vIXT2_EEEvE4typeEPT_PT0_S4_ ; -- Begin function _Z33head_segmented_warp_reduce_kernelIihLj63ELj7EENSt9enable_ifIXsr10test_utilsE35device_test_enabled_for_warp_size_vIXT2_EEEvE4typeEPT_PT0_S4_
	.globl	_Z33head_segmented_warp_reduce_kernelIihLj63ELj7EENSt9enable_ifIXsr10test_utilsE35device_test_enabled_for_warp_size_vIXT2_EEEvE4typeEPT_PT0_S4_
	.p2align	8
	.type	_Z33head_segmented_warp_reduce_kernelIihLj63ELj7EENSt9enable_ifIXsr10test_utilsE35device_test_enabled_for_warp_size_vIXT2_EEEvE4typeEPT_PT0_S4_,@function
_Z33head_segmented_warp_reduce_kernelIihLj63ELj7EENSt9enable_ifIXsr10test_utilsE35device_test_enabled_for_warp_size_vIXT2_EEEvE4typeEPT_PT0_S4_: ; @_Z33head_segmented_warp_reduce_kernelIihLj63ELj7EENSt9enable_ifIXsr10test_utilsE35device_test_enabled_for_warp_size_vIXT2_EEEvE4typeEPT_PT0_S4_
; %bb.0:
	s_load_dword s2, s[4:5], 0x24
	s_load_dwordx4 s[8:11], s[4:5], 0x0
	s_load_dwordx2 s[0:1], s[4:5], 0x10
	v_mov_b32_e32 v5, 0
	s_waitcnt lgkmcnt(0)
	s_and_b32 s2, s2, 0xffff
	s_mul_i32 s6, s6, s2
	v_add_u32_e32 v4, s6, v0
	global_load_ubyte v8, v4, s[10:11]
	v_lshlrev_b64 v[2:3], 2, v[4:5]
	v_mov_b32_e32 v1, s9
	v_add_co_u32_e32 v4, vcc, s8, v2
	v_addc_co_u32_e32 v5, vcc, v1, v3, vcc
	global_load_dword v1, v[4:5], off
	v_mbcnt_lo_u32_b32 v4, -1, 0
	s_mov_b32 s2, 0x24924925
	v_mul_u32_u24_e32 v0, 0x2493, v0
	v_mbcnt_hi_u32_b32 v4, -1, v4
	v_lshrrev_b32_e32 v5, 16, v0
	v_mul_hi_u32 v0, v4, s2
	v_lshlrev_b64 v[6:7], v4, -1
	v_mul_u32_u24_e32 v9, 7, v0
	v_sub_u32_e32 v0, v4, v9
	v_lshlrev_b32_e32 v4, 2, v0
	v_mad_u32_u24 v4, v5, 28, v4
	s_waitcnt vmcnt(1)
	v_cmp_ne_u16_e32 vcc, 0, v8
	s_lshr_b64 s[2:3], vcc, 1
	v_and_b32_e32 v7, s3, v7
	v_and_b32_e32 v6, s2, v6
	v_lshrrev_b64 v[6:7], v9, v[6:7]
	v_or_b32_e32 v5, 64, v6
	v_ffbl_b32_e32 v6, v7
	v_add_u32_e32 v6, 32, v6
	v_ffbl_b32_e32 v5, v5
	v_min_u32_e32 v5, v5, v6
	v_cmp_lt_u32_e32 vcc, v0, v5
	s_waitcnt vmcnt(0)
	ds_write_b32 v4, v1
	; wave barrier
	s_and_saveexec_b64 s[2:3], vcc
	s_cbranch_execz .LBB145_2
; %bb.1:
	ds_read_b32 v6, v4 offset:4
	s_waitcnt lgkmcnt(0)
	v_add_u32_e32 v1, v6, v1
.LBB145_2:
	s_or_b64 exec, exec, s[2:3]
	v_add_u32_e32 v6, 2, v0
	v_cmp_le_u32_e32 vcc, v6, v5
	; wave barrier
	ds_write_b32 v4, v1
	; wave barrier
	s_and_saveexec_b64 s[2:3], vcc
	s_cbranch_execz .LBB145_4
; %bb.3:
	ds_read_b32 v6, v4 offset:8
	s_waitcnt lgkmcnt(0)
	v_add_u32_e32 v1, v6, v1
.LBB145_4:
	s_or_b64 exec, exec, s[2:3]
	v_add_u32_e32 v0, 4, v0
	v_cmp_le_u32_e32 vcc, v0, v5
	; wave barrier
	ds_write_b32 v4, v1
	; wave barrier
	s_and_saveexec_b64 s[2:3], vcc
	s_cbranch_execz .LBB145_6
; %bb.5:
	ds_read_b32 v0, v4 offset:16
	s_waitcnt lgkmcnt(0)
	v_add_u32_e32 v1, v0, v1
.LBB145_6:
	s_or_b64 exec, exec, s[2:3]
	v_mov_b32_e32 v0, s1
	v_add_co_u32_e32 v2, vcc, s0, v2
	v_addc_co_u32_e32 v3, vcc, v0, v3, vcc
	; wave barrier
	global_store_dword v[2:3], v1, off
	s_endpgm
	.section	.rodata,"a",@progbits
	.p2align	6, 0x0
	.amdhsa_kernel _Z33head_segmented_warp_reduce_kernelIihLj63ELj7EENSt9enable_ifIXsr10test_utilsE35device_test_enabled_for_warp_size_vIXT2_EEEvE4typeEPT_PT0_S4_
		.amdhsa_group_segment_fixed_size 252
		.amdhsa_private_segment_fixed_size 0
		.amdhsa_kernarg_size 280
		.amdhsa_user_sgpr_count 6
		.amdhsa_user_sgpr_private_segment_buffer 1
		.amdhsa_user_sgpr_dispatch_ptr 0
		.amdhsa_user_sgpr_queue_ptr 0
		.amdhsa_user_sgpr_kernarg_segment_ptr 1
		.amdhsa_user_sgpr_dispatch_id 0
		.amdhsa_user_sgpr_flat_scratch_init 0
		.amdhsa_user_sgpr_kernarg_preload_length 0
		.amdhsa_user_sgpr_kernarg_preload_offset 0
		.amdhsa_user_sgpr_private_segment_size 0
		.amdhsa_uses_dynamic_stack 0
		.amdhsa_system_sgpr_private_segment_wavefront_offset 0
		.amdhsa_system_sgpr_workgroup_id_x 1
		.amdhsa_system_sgpr_workgroup_id_y 0
		.amdhsa_system_sgpr_workgroup_id_z 0
		.amdhsa_system_sgpr_workgroup_info 0
		.amdhsa_system_vgpr_workitem_id 0
		.amdhsa_next_free_vgpr 10
		.amdhsa_next_free_sgpr 12
		.amdhsa_accum_offset 12
		.amdhsa_reserve_vcc 1
		.amdhsa_reserve_flat_scratch 0
		.amdhsa_float_round_mode_32 0
		.amdhsa_float_round_mode_16_64 0
		.amdhsa_float_denorm_mode_32 3
		.amdhsa_float_denorm_mode_16_64 3
		.amdhsa_dx10_clamp 1
		.amdhsa_ieee_mode 1
		.amdhsa_fp16_overflow 0
		.amdhsa_tg_split 0
		.amdhsa_exception_fp_ieee_invalid_op 0
		.amdhsa_exception_fp_denorm_src 0
		.amdhsa_exception_fp_ieee_div_zero 0
		.amdhsa_exception_fp_ieee_overflow 0
		.amdhsa_exception_fp_ieee_underflow 0
		.amdhsa_exception_fp_ieee_inexact 0
		.amdhsa_exception_int_div_zero 0
	.end_amdhsa_kernel
	.section	.text._Z33head_segmented_warp_reduce_kernelIihLj63ELj7EENSt9enable_ifIXsr10test_utilsE35device_test_enabled_for_warp_size_vIXT2_EEEvE4typeEPT_PT0_S4_,"axG",@progbits,_Z33head_segmented_warp_reduce_kernelIihLj63ELj7EENSt9enable_ifIXsr10test_utilsE35device_test_enabled_for_warp_size_vIXT2_EEEvE4typeEPT_PT0_S4_,comdat
.Lfunc_end145:
	.size	_Z33head_segmented_warp_reduce_kernelIihLj63ELj7EENSt9enable_ifIXsr10test_utilsE35device_test_enabled_for_warp_size_vIXT2_EEEvE4typeEPT_PT0_S4_, .Lfunc_end145-_Z33head_segmented_warp_reduce_kernelIihLj63ELj7EENSt9enable_ifIXsr10test_utilsE35device_test_enabled_for_warp_size_vIXT2_EEEvE4typeEPT_PT0_S4_
                                        ; -- End function
	.section	.AMDGPU.csdata,"",@progbits
; Kernel info:
; codeLenInByte = 360
; NumSgprs: 16
; NumVgprs: 10
; NumAgprs: 0
; TotalNumVgprs: 10
; ScratchSize: 0
; MemoryBound: 0
; FloatMode: 240
; IeeeMode: 1
; LDSByteSize: 252 bytes/workgroup (compile time only)
; SGPRBlocks: 1
; VGPRBlocks: 1
; NumSGPRsForWavesPerEU: 16
; NumVGPRsForWavesPerEU: 10
; AccumOffset: 12
; Occupancy: 8
; WaveLimiterHint : 0
; COMPUTE_PGM_RSRC2:SCRATCH_EN: 0
; COMPUTE_PGM_RSRC2:USER_SGPR: 6
; COMPUTE_PGM_RSRC2:TRAP_HANDLER: 0
; COMPUTE_PGM_RSRC2:TGID_X_EN: 1
; COMPUTE_PGM_RSRC2:TGID_Y_EN: 0
; COMPUTE_PGM_RSRC2:TGID_Z_EN: 0
; COMPUTE_PGM_RSRC2:TIDIG_COMP_CNT: 0
; COMPUTE_PGM_RSRC3_GFX90A:ACCUM_OFFSET: 2
; COMPUTE_PGM_RSRC3_GFX90A:TG_SPLIT: 0
	.section	.text._Z33head_segmented_warp_reduce_kernelIihLj30ELj3EENSt9enable_ifIXsr10test_utilsE35device_test_enabled_for_warp_size_vIXT2_EEEvE4typeEPT_PT0_S4_,"axG",@progbits,_Z33head_segmented_warp_reduce_kernelIihLj30ELj3EENSt9enable_ifIXsr10test_utilsE35device_test_enabled_for_warp_size_vIXT2_EEEvE4typeEPT_PT0_S4_,comdat
	.protected	_Z33head_segmented_warp_reduce_kernelIihLj30ELj3EENSt9enable_ifIXsr10test_utilsE35device_test_enabled_for_warp_size_vIXT2_EEEvE4typeEPT_PT0_S4_ ; -- Begin function _Z33head_segmented_warp_reduce_kernelIihLj30ELj3EENSt9enable_ifIXsr10test_utilsE35device_test_enabled_for_warp_size_vIXT2_EEEvE4typeEPT_PT0_S4_
	.globl	_Z33head_segmented_warp_reduce_kernelIihLj30ELj3EENSt9enable_ifIXsr10test_utilsE35device_test_enabled_for_warp_size_vIXT2_EEEvE4typeEPT_PT0_S4_
	.p2align	8
	.type	_Z33head_segmented_warp_reduce_kernelIihLj30ELj3EENSt9enable_ifIXsr10test_utilsE35device_test_enabled_for_warp_size_vIXT2_EEEvE4typeEPT_PT0_S4_,@function
_Z33head_segmented_warp_reduce_kernelIihLj30ELj3EENSt9enable_ifIXsr10test_utilsE35device_test_enabled_for_warp_size_vIXT2_EEEvE4typeEPT_PT0_S4_: ; @_Z33head_segmented_warp_reduce_kernelIihLj30ELj3EENSt9enable_ifIXsr10test_utilsE35device_test_enabled_for_warp_size_vIXT2_EEEvE4typeEPT_PT0_S4_
; %bb.0:
	s_load_dword s2, s[4:5], 0x24
	s_load_dwordx4 s[8:11], s[4:5], 0x0
	s_load_dwordx2 s[0:1], s[4:5], 0x10
	v_mov_b32_e32 v5, 0
	s_waitcnt lgkmcnt(0)
	s_and_b32 s2, s2, 0xffff
	s_mul_i32 s6, s6, s2
	v_add_u32_e32 v4, s6, v0
	global_load_ubyte v8, v4, s[10:11]
	v_lshlrev_b64 v[2:3], 2, v[4:5]
	v_mov_b32_e32 v1, s9
	v_add_co_u32_e32 v4, vcc, s8, v2
	v_addc_co_u32_e32 v5, vcc, v1, v3, vcc
	global_load_dword v1, v[4:5], off
	v_mbcnt_lo_u32_b32 v4, -1, 0
	s_mov_b32 s2, 0x55555556
	v_mul_u32_u24_e32 v0, 0x5556, v0
	v_mbcnt_hi_u32_b32 v4, -1, v4
	v_lshrrev_b32_e32 v5, 16, v0
	v_mul_hi_u32 v0, v4, s2
	v_lshlrev_b64 v[6:7], v4, -1
	v_mul_u32_u24_e32 v9, 3, v0
	v_sub_u32_e32 v0, v4, v9
	v_lshlrev_b32_e32 v4, 2, v0
	v_mad_u32_u24 v4, v5, 12, v4
	s_waitcnt vmcnt(1)
	v_cmp_ne_u16_e32 vcc, 0, v8
	s_lshr_b64 s[2:3], vcc, 1
	v_and_b32_e32 v7, s3, v7
	v_and_b32_e32 v6, s2, v6
	v_lshrrev_b64 v[6:7], v9, v[6:7]
	v_or_b32_e32 v5, 4, v6
	v_ffbl_b32_e32 v6, v7
	v_add_u32_e32 v6, 32, v6
	v_ffbl_b32_e32 v5, v5
	v_min_u32_e32 v5, v5, v6
	v_cmp_lt_u32_e32 vcc, v0, v5
	s_waitcnt vmcnt(0)
	ds_write_b32 v4, v1
	; wave barrier
	s_and_saveexec_b64 s[2:3], vcc
	s_cbranch_execz .LBB146_2
; %bb.1:
	ds_read_b32 v6, v4 offset:4
	s_waitcnt lgkmcnt(0)
	v_add_u32_e32 v1, v6, v1
.LBB146_2:
	s_or_b64 exec, exec, s[2:3]
	v_add_u32_e32 v0, 2, v0
	v_cmp_le_u32_e32 vcc, v0, v5
	; wave barrier
	ds_write_b32 v4, v1
	; wave barrier
	s_and_saveexec_b64 s[2:3], vcc
	s_cbranch_execz .LBB146_4
; %bb.3:
	ds_read_b32 v0, v4 offset:8
	s_waitcnt lgkmcnt(0)
	v_add_u32_e32 v1, v0, v1
.LBB146_4:
	s_or_b64 exec, exec, s[2:3]
	v_mov_b32_e32 v0, s1
	v_add_co_u32_e32 v2, vcc, s0, v2
	v_addc_co_u32_e32 v3, vcc, v0, v3, vcc
	; wave barrier
	global_store_dword v[2:3], v1, off
	s_endpgm
	.section	.rodata,"a",@progbits
	.p2align	6, 0x0
	.amdhsa_kernel _Z33head_segmented_warp_reduce_kernelIihLj30ELj3EENSt9enable_ifIXsr10test_utilsE35device_test_enabled_for_warp_size_vIXT2_EEEvE4typeEPT_PT0_S4_
		.amdhsa_group_segment_fixed_size 120
		.amdhsa_private_segment_fixed_size 0
		.amdhsa_kernarg_size 280
		.amdhsa_user_sgpr_count 6
		.amdhsa_user_sgpr_private_segment_buffer 1
		.amdhsa_user_sgpr_dispatch_ptr 0
		.amdhsa_user_sgpr_queue_ptr 0
		.amdhsa_user_sgpr_kernarg_segment_ptr 1
		.amdhsa_user_sgpr_dispatch_id 0
		.amdhsa_user_sgpr_flat_scratch_init 0
		.amdhsa_user_sgpr_kernarg_preload_length 0
		.amdhsa_user_sgpr_kernarg_preload_offset 0
		.amdhsa_user_sgpr_private_segment_size 0
		.amdhsa_uses_dynamic_stack 0
		.amdhsa_system_sgpr_private_segment_wavefront_offset 0
		.amdhsa_system_sgpr_workgroup_id_x 1
		.amdhsa_system_sgpr_workgroup_id_y 0
		.amdhsa_system_sgpr_workgroup_id_z 0
		.amdhsa_system_sgpr_workgroup_info 0
		.amdhsa_system_vgpr_workitem_id 0
		.amdhsa_next_free_vgpr 10
		.amdhsa_next_free_sgpr 12
		.amdhsa_accum_offset 12
		.amdhsa_reserve_vcc 1
		.amdhsa_reserve_flat_scratch 0
		.amdhsa_float_round_mode_32 0
		.amdhsa_float_round_mode_16_64 0
		.amdhsa_float_denorm_mode_32 3
		.amdhsa_float_denorm_mode_16_64 3
		.amdhsa_dx10_clamp 1
		.amdhsa_ieee_mode 1
		.amdhsa_fp16_overflow 0
		.amdhsa_tg_split 0
		.amdhsa_exception_fp_ieee_invalid_op 0
		.amdhsa_exception_fp_denorm_src 0
		.amdhsa_exception_fp_ieee_div_zero 0
		.amdhsa_exception_fp_ieee_overflow 0
		.amdhsa_exception_fp_ieee_underflow 0
		.amdhsa_exception_fp_ieee_inexact 0
		.amdhsa_exception_int_div_zero 0
	.end_amdhsa_kernel
	.section	.text._Z33head_segmented_warp_reduce_kernelIihLj30ELj3EENSt9enable_ifIXsr10test_utilsE35device_test_enabled_for_warp_size_vIXT2_EEEvE4typeEPT_PT0_S4_,"axG",@progbits,_Z33head_segmented_warp_reduce_kernelIihLj30ELj3EENSt9enable_ifIXsr10test_utilsE35device_test_enabled_for_warp_size_vIXT2_EEEvE4typeEPT_PT0_S4_,comdat
.Lfunc_end146:
	.size	_Z33head_segmented_warp_reduce_kernelIihLj30ELj3EENSt9enable_ifIXsr10test_utilsE35device_test_enabled_for_warp_size_vIXT2_EEEvE4typeEPT_PT0_S4_, .Lfunc_end146-_Z33head_segmented_warp_reduce_kernelIihLj30ELj3EENSt9enable_ifIXsr10test_utilsE35device_test_enabled_for_warp_size_vIXT2_EEEvE4typeEPT_PT0_S4_
                                        ; -- End function
	.section	.AMDGPU.csdata,"",@progbits
; Kernel info:
; codeLenInByte = 316
; NumSgprs: 16
; NumVgprs: 10
; NumAgprs: 0
; TotalNumVgprs: 10
; ScratchSize: 0
; MemoryBound: 0
; FloatMode: 240
; IeeeMode: 1
; LDSByteSize: 120 bytes/workgroup (compile time only)
; SGPRBlocks: 1
; VGPRBlocks: 1
; NumSGPRsForWavesPerEU: 16
; NumVGPRsForWavesPerEU: 10
; AccumOffset: 12
; Occupancy: 8
; WaveLimiterHint : 0
; COMPUTE_PGM_RSRC2:SCRATCH_EN: 0
; COMPUTE_PGM_RSRC2:USER_SGPR: 6
; COMPUTE_PGM_RSRC2:TRAP_HANDLER: 0
; COMPUTE_PGM_RSRC2:TGID_X_EN: 1
; COMPUTE_PGM_RSRC2:TGID_Y_EN: 0
; COMPUTE_PGM_RSRC2:TGID_Z_EN: 0
; COMPUTE_PGM_RSRC2:TIDIG_COMP_CNT: 0
; COMPUTE_PGM_RSRC3_GFX90A:ACCUM_OFFSET: 2
; COMPUTE_PGM_RSRC3_GFX90A:TG_SPLIT: 0
	.section	.text._Z33head_segmented_warp_reduce_kernelIihLj63ELj3EENSt9enable_ifIXsr10test_utilsE35device_test_enabled_for_warp_size_vIXT2_EEEvE4typeEPT_PT0_S4_,"axG",@progbits,_Z33head_segmented_warp_reduce_kernelIihLj63ELj3EENSt9enable_ifIXsr10test_utilsE35device_test_enabled_for_warp_size_vIXT2_EEEvE4typeEPT_PT0_S4_,comdat
	.protected	_Z33head_segmented_warp_reduce_kernelIihLj63ELj3EENSt9enable_ifIXsr10test_utilsE35device_test_enabled_for_warp_size_vIXT2_EEEvE4typeEPT_PT0_S4_ ; -- Begin function _Z33head_segmented_warp_reduce_kernelIihLj63ELj3EENSt9enable_ifIXsr10test_utilsE35device_test_enabled_for_warp_size_vIXT2_EEEvE4typeEPT_PT0_S4_
	.globl	_Z33head_segmented_warp_reduce_kernelIihLj63ELj3EENSt9enable_ifIXsr10test_utilsE35device_test_enabled_for_warp_size_vIXT2_EEEvE4typeEPT_PT0_S4_
	.p2align	8
	.type	_Z33head_segmented_warp_reduce_kernelIihLj63ELj3EENSt9enable_ifIXsr10test_utilsE35device_test_enabled_for_warp_size_vIXT2_EEEvE4typeEPT_PT0_S4_,@function
_Z33head_segmented_warp_reduce_kernelIihLj63ELj3EENSt9enable_ifIXsr10test_utilsE35device_test_enabled_for_warp_size_vIXT2_EEEvE4typeEPT_PT0_S4_: ; @_Z33head_segmented_warp_reduce_kernelIihLj63ELj3EENSt9enable_ifIXsr10test_utilsE35device_test_enabled_for_warp_size_vIXT2_EEEvE4typeEPT_PT0_S4_
; %bb.0:
	s_load_dword s2, s[4:5], 0x24
	s_load_dwordx4 s[8:11], s[4:5], 0x0
	s_load_dwordx2 s[0:1], s[4:5], 0x10
	v_mov_b32_e32 v5, 0
	s_waitcnt lgkmcnt(0)
	s_and_b32 s2, s2, 0xffff
	s_mul_i32 s6, s6, s2
	v_add_u32_e32 v4, s6, v0
	global_load_ubyte v8, v4, s[10:11]
	v_lshlrev_b64 v[2:3], 2, v[4:5]
	v_mov_b32_e32 v1, s9
	v_add_co_u32_e32 v4, vcc, s8, v2
	v_addc_co_u32_e32 v5, vcc, v1, v3, vcc
	global_load_dword v1, v[4:5], off
	v_mbcnt_lo_u32_b32 v4, -1, 0
	s_mov_b32 s2, 0x55555556
	v_mul_u32_u24_e32 v0, 0x5556, v0
	v_mbcnt_hi_u32_b32 v4, -1, v4
	v_lshrrev_b32_e32 v5, 16, v0
	v_mul_hi_u32 v0, v4, s2
	v_lshlrev_b64 v[6:7], v4, -1
	v_mul_u32_u24_e32 v9, 3, v0
	v_sub_u32_e32 v0, v4, v9
	v_lshlrev_b32_e32 v4, 2, v0
	v_mad_u32_u24 v4, v5, 12, v4
	s_waitcnt vmcnt(1)
	v_cmp_ne_u16_e32 vcc, 0, v8
	s_lshr_b64 s[2:3], vcc, 1
	v_and_b32_e32 v7, s3, v7
	v_and_b32_e32 v6, s2, v6
	v_lshrrev_b64 v[6:7], v9, v[6:7]
	v_or_b32_e32 v5, 4, v6
	v_ffbl_b32_e32 v6, v7
	v_add_u32_e32 v6, 32, v6
	v_ffbl_b32_e32 v5, v5
	v_min_u32_e32 v5, v5, v6
	v_cmp_lt_u32_e32 vcc, v0, v5
	s_waitcnt vmcnt(0)
	ds_write_b32 v4, v1
	; wave barrier
	s_and_saveexec_b64 s[2:3], vcc
	s_cbranch_execz .LBB147_2
; %bb.1:
	ds_read_b32 v6, v4 offset:4
	s_waitcnt lgkmcnt(0)
	v_add_u32_e32 v1, v6, v1
.LBB147_2:
	s_or_b64 exec, exec, s[2:3]
	v_add_u32_e32 v0, 2, v0
	v_cmp_le_u32_e32 vcc, v0, v5
	; wave barrier
	ds_write_b32 v4, v1
	; wave barrier
	s_and_saveexec_b64 s[2:3], vcc
	s_cbranch_execz .LBB147_4
; %bb.3:
	ds_read_b32 v0, v4 offset:8
	s_waitcnt lgkmcnt(0)
	v_add_u32_e32 v1, v0, v1
.LBB147_4:
	s_or_b64 exec, exec, s[2:3]
	v_mov_b32_e32 v0, s1
	v_add_co_u32_e32 v2, vcc, s0, v2
	v_addc_co_u32_e32 v3, vcc, v0, v3, vcc
	; wave barrier
	global_store_dword v[2:3], v1, off
	s_endpgm
	.section	.rodata,"a",@progbits
	.p2align	6, 0x0
	.amdhsa_kernel _Z33head_segmented_warp_reduce_kernelIihLj63ELj3EENSt9enable_ifIXsr10test_utilsE35device_test_enabled_for_warp_size_vIXT2_EEEvE4typeEPT_PT0_S4_
		.amdhsa_group_segment_fixed_size 252
		.amdhsa_private_segment_fixed_size 0
		.amdhsa_kernarg_size 280
		.amdhsa_user_sgpr_count 6
		.amdhsa_user_sgpr_private_segment_buffer 1
		.amdhsa_user_sgpr_dispatch_ptr 0
		.amdhsa_user_sgpr_queue_ptr 0
		.amdhsa_user_sgpr_kernarg_segment_ptr 1
		.amdhsa_user_sgpr_dispatch_id 0
		.amdhsa_user_sgpr_flat_scratch_init 0
		.amdhsa_user_sgpr_kernarg_preload_length 0
		.amdhsa_user_sgpr_kernarg_preload_offset 0
		.amdhsa_user_sgpr_private_segment_size 0
		.amdhsa_uses_dynamic_stack 0
		.amdhsa_system_sgpr_private_segment_wavefront_offset 0
		.amdhsa_system_sgpr_workgroup_id_x 1
		.amdhsa_system_sgpr_workgroup_id_y 0
		.amdhsa_system_sgpr_workgroup_id_z 0
		.amdhsa_system_sgpr_workgroup_info 0
		.amdhsa_system_vgpr_workitem_id 0
		.amdhsa_next_free_vgpr 10
		.amdhsa_next_free_sgpr 12
		.amdhsa_accum_offset 12
		.amdhsa_reserve_vcc 1
		.amdhsa_reserve_flat_scratch 0
		.amdhsa_float_round_mode_32 0
		.amdhsa_float_round_mode_16_64 0
		.amdhsa_float_denorm_mode_32 3
		.amdhsa_float_denorm_mode_16_64 3
		.amdhsa_dx10_clamp 1
		.amdhsa_ieee_mode 1
		.amdhsa_fp16_overflow 0
		.amdhsa_tg_split 0
		.amdhsa_exception_fp_ieee_invalid_op 0
		.amdhsa_exception_fp_denorm_src 0
		.amdhsa_exception_fp_ieee_div_zero 0
		.amdhsa_exception_fp_ieee_overflow 0
		.amdhsa_exception_fp_ieee_underflow 0
		.amdhsa_exception_fp_ieee_inexact 0
		.amdhsa_exception_int_div_zero 0
	.end_amdhsa_kernel
	.section	.text._Z33head_segmented_warp_reduce_kernelIihLj63ELj3EENSt9enable_ifIXsr10test_utilsE35device_test_enabled_for_warp_size_vIXT2_EEEvE4typeEPT_PT0_S4_,"axG",@progbits,_Z33head_segmented_warp_reduce_kernelIihLj63ELj3EENSt9enable_ifIXsr10test_utilsE35device_test_enabled_for_warp_size_vIXT2_EEEvE4typeEPT_PT0_S4_,comdat
.Lfunc_end147:
	.size	_Z33head_segmented_warp_reduce_kernelIihLj63ELj3EENSt9enable_ifIXsr10test_utilsE35device_test_enabled_for_warp_size_vIXT2_EEEvE4typeEPT_PT0_S4_, .Lfunc_end147-_Z33head_segmented_warp_reduce_kernelIihLj63ELj3EENSt9enable_ifIXsr10test_utilsE35device_test_enabled_for_warp_size_vIXT2_EEEvE4typeEPT_PT0_S4_
                                        ; -- End function
	.section	.AMDGPU.csdata,"",@progbits
; Kernel info:
; codeLenInByte = 316
; NumSgprs: 16
; NumVgprs: 10
; NumAgprs: 0
; TotalNumVgprs: 10
; ScratchSize: 0
; MemoryBound: 0
; FloatMode: 240
; IeeeMode: 1
; LDSByteSize: 252 bytes/workgroup (compile time only)
; SGPRBlocks: 1
; VGPRBlocks: 1
; NumSGPRsForWavesPerEU: 16
; NumVGPRsForWavesPerEU: 10
; AccumOffset: 12
; Occupancy: 8
; WaveLimiterHint : 0
; COMPUTE_PGM_RSRC2:SCRATCH_EN: 0
; COMPUTE_PGM_RSRC2:USER_SGPR: 6
; COMPUTE_PGM_RSRC2:TRAP_HANDLER: 0
; COMPUTE_PGM_RSRC2:TGID_X_EN: 1
; COMPUTE_PGM_RSRC2:TGID_Y_EN: 0
; COMPUTE_PGM_RSRC2:TGID_Z_EN: 0
; COMPUTE_PGM_RSRC2:TIDIG_COMP_CNT: 0
; COMPUTE_PGM_RSRC3_GFX90A:ACCUM_OFFSET: 2
; COMPUTE_PGM_RSRC3_GFX90A:TG_SPLIT: 0
	.section	.text._Z33head_segmented_warp_reduce_kernelI12hip_bfloat16hLj256ELj64EENSt9enable_ifIXsr10test_utilsE35device_test_enabled_for_warp_size_vIXT2_EEEvE4typeEPT_PT0_S5_,"axG",@progbits,_Z33head_segmented_warp_reduce_kernelI12hip_bfloat16hLj256ELj64EENSt9enable_ifIXsr10test_utilsE35device_test_enabled_for_warp_size_vIXT2_EEEvE4typeEPT_PT0_S5_,comdat
	.protected	_Z33head_segmented_warp_reduce_kernelI12hip_bfloat16hLj256ELj64EENSt9enable_ifIXsr10test_utilsE35device_test_enabled_for_warp_size_vIXT2_EEEvE4typeEPT_PT0_S5_ ; -- Begin function _Z33head_segmented_warp_reduce_kernelI12hip_bfloat16hLj256ELj64EENSt9enable_ifIXsr10test_utilsE35device_test_enabled_for_warp_size_vIXT2_EEEvE4typeEPT_PT0_S5_
	.globl	_Z33head_segmented_warp_reduce_kernelI12hip_bfloat16hLj256ELj64EENSt9enable_ifIXsr10test_utilsE35device_test_enabled_for_warp_size_vIXT2_EEEvE4typeEPT_PT0_S5_
	.p2align	8
	.type	_Z33head_segmented_warp_reduce_kernelI12hip_bfloat16hLj256ELj64EENSt9enable_ifIXsr10test_utilsE35device_test_enabled_for_warp_size_vIXT2_EEEvE4typeEPT_PT0_S5_,@function
_Z33head_segmented_warp_reduce_kernelI12hip_bfloat16hLj256ELj64EENSt9enable_ifIXsr10test_utilsE35device_test_enabled_for_warp_size_vIXT2_EEEvE4typeEPT_PT0_S5_: ; @_Z33head_segmented_warp_reduce_kernelI12hip_bfloat16hLj256ELj64EENSt9enable_ifIXsr10test_utilsE35device_test_enabled_for_warp_size_vIXT2_EEEvE4typeEPT_PT0_S5_
; %bb.0:
	s_load_dword s2, s[4:5], 0x24
	s_load_dwordx4 s[8:11], s[4:5], 0x0
	s_load_dwordx2 s[0:1], s[4:5], 0x10
	v_mov_b32_e32 v3, 0
	s_waitcnt lgkmcnt(0)
	s_and_b32 s2, s2, 0xffff
	s_mul_i32 s6, s6, s2
	v_add_u32_e32 v2, s6, v0
	v_lshlrev_b64 v[0:1], 1, v[2:3]
	v_mov_b32_e32 v3, s9
	global_load_ubyte v8, v2, s[10:11]
	v_add_co_u32_e32 v2, vcc, s8, v0
	v_addc_co_u32_e32 v3, vcc, v3, v1, vcc
	global_load_ushort v2, v[2:3], off
	v_mbcnt_lo_u32_b32 v3, -1, 0
	v_mbcnt_hi_u32_b32 v4, -1, v3
	v_and_b32_e32 v5, 63, v4
	v_cmp_ne_u32_e32 vcc, 63, v5
	v_addc_co_u32_e32 v3, vcc, 0, v4, vcc
	v_lshlrev_b64 v[6:7], v4, -1
	v_lshlrev_b32_e32 v9, 2, v3
	s_waitcnt vmcnt(1)
	v_cmp_ne_u16_e32 vcc, 0, v8
	s_lshr_b64 s[2:3], vcc, 1
	v_and_b32_e32 v7, s3, v7
	v_or_b32_e32 v8, 0x80000000, v7
	v_and_b32_e32 v6, s2, v6
	s_waitcnt vmcnt(0)
	v_and_b32_e32 v3, 0xffff, v2
	ds_bpermute_b32 v7, v9, v3
	v_ffbl_b32_e32 v8, v8
	v_ffbl_b32_e32 v6, v6
	v_add_u32_e32 v8, 32, v8
	v_min_u32_e32 v6, v6, v8
	v_add_u32_e32 v8, 1, v4
	v_cmp_le_u32_e32 vcc, v8, v6
	s_and_saveexec_b64 s[2:3], vcc
	s_cbranch_execz .LBB148_6
; %bb.1:
	s_waitcnt lgkmcnt(0)
	v_lshlrev_b32_e32 v2, 16, v7
	v_lshlrev_b32_e32 v8, 16, v3
	v_pk_add_f32 v[2:3], v[2:3], v[8:9] op_sel_hi:[0,1]
	s_mov_b32 s4, 0x7f800000
	v_and_b32_e32 v3, 0x7f800000, v2
	v_cmp_ne_u32_e32 vcc, s4, v3
                                        ; implicit-def: $vgpr7
	s_and_saveexec_b64 s[4:5], vcc
	s_xor_b64 s[4:5], exec, s[4:5]
; %bb.2:
	v_bfe_u32 v3, v2, 16, 1
	s_movk_i32 s6, 0x7fff
	v_add3_u32 v7, v2, v3, s6
                                        ; implicit-def: $vgpr2_vgpr3
; %bb.3:
	s_andn2_saveexec_b64 s[4:5], s[4:5]
; %bb.4:
	v_mov_b32_e32 v3, 0
	v_or_b32_e32 v7, 0x10000, v2
	v_cmp_eq_u32_sdwa vcc, v2, v3 src0_sel:WORD_0 src1_sel:DWORD
	v_cndmask_b32_e32 v7, v7, v2, vcc
; %bb.5:
	s_or_b64 exec, exec, s[4:5]
	v_lshrrev_b32_e32 v3, 16, v7
	v_mov_b32_e32 v2, v3
.LBB148_6:
	s_or_b64 exec, exec, s[2:3]
	v_cmp_gt_u32_e32 vcc, 62, v5
	s_waitcnt lgkmcnt(0)
	v_cndmask_b32_e64 v7, 0, 1, vcc
	v_lshlrev_b32_e32 v7, 1, v7
	v_add_lshl_u32 v7, v7, v4, 2
	ds_bpermute_b32 v7, v7, v3
	v_add_u32_e32 v8, 2, v4
	v_cmp_le_u32_e32 vcc, v8, v6
	s_and_saveexec_b64 s[2:3], vcc
	s_cbranch_execz .LBB148_12
; %bb.7:
	s_waitcnt lgkmcnt(0)
	v_lshlrev_b32_e32 v2, 16, v7
	v_lshlrev_b32_e32 v8, 16, v3
	v_pk_add_f32 v[2:3], v[2:3], v[8:9] op_sel_hi:[0,1]
	s_mov_b32 s4, 0x7f800000
	v_and_b32_e32 v3, 0x7f800000, v2
	v_cmp_ne_u32_e32 vcc, s4, v3
                                        ; implicit-def: $vgpr7
	s_and_saveexec_b64 s[4:5], vcc
	s_xor_b64 s[4:5], exec, s[4:5]
; %bb.8:
	v_bfe_u32 v3, v2, 16, 1
	s_movk_i32 s6, 0x7fff
	v_add3_u32 v7, v2, v3, s6
                                        ; implicit-def: $vgpr2_vgpr3
; %bb.9:
	s_andn2_saveexec_b64 s[4:5], s[4:5]
; %bb.10:
	v_mov_b32_e32 v3, 0
	v_or_b32_e32 v7, 0x10000, v2
	v_cmp_eq_u32_sdwa vcc, v2, v3 src0_sel:WORD_0 src1_sel:DWORD
	v_cndmask_b32_e32 v7, v7, v2, vcc
; %bb.11:
	s_or_b64 exec, exec, s[4:5]
	v_lshrrev_b32_e32 v3, 16, v7
	v_mov_b32_e32 v2, v3
.LBB148_12:
	s_or_b64 exec, exec, s[2:3]
	v_cmp_gt_u32_e32 vcc, 60, v5
	s_waitcnt lgkmcnt(0)
	v_cndmask_b32_e64 v7, 0, 1, vcc
	v_lshlrev_b32_e32 v7, 2, v7
	v_add_lshl_u32 v7, v7, v4, 2
	ds_bpermute_b32 v7, v7, v3
	;; [unrolled: 39-line block ×4, first 2 shown]
	v_add_u32_e32 v8, 16, v4
	v_cmp_le_u32_e32 vcc, v8, v6
	s_and_saveexec_b64 s[2:3], vcc
	s_cbranch_execz .LBB148_30
; %bb.25:
	s_waitcnt lgkmcnt(0)
	v_lshlrev_b32_e32 v2, 16, v7
	v_lshlrev_b32_e32 v8, 16, v3
	v_pk_add_f32 v[2:3], v[2:3], v[8:9] op_sel_hi:[0,1]
	s_mov_b32 s4, 0x7f800000
	v_and_b32_e32 v3, 0x7f800000, v2
	v_cmp_ne_u32_e32 vcc, s4, v3
                                        ; implicit-def: $vgpr7
	s_and_saveexec_b64 s[4:5], vcc
	s_xor_b64 s[4:5], exec, s[4:5]
; %bb.26:
	v_bfe_u32 v3, v2, 16, 1
	s_movk_i32 s6, 0x7fff
	v_add3_u32 v7, v2, v3, s6
                                        ; implicit-def: $vgpr2_vgpr3
; %bb.27:
	s_andn2_saveexec_b64 s[4:5], s[4:5]
; %bb.28:
	v_mov_b32_e32 v3, 0
	v_or_b32_e32 v7, 0x10000, v2
	v_cmp_eq_u32_sdwa vcc, v2, v3 src0_sel:WORD_0 src1_sel:DWORD
	v_cndmask_b32_e32 v7, v7, v2, vcc
; %bb.29:
	s_or_b64 exec, exec, s[4:5]
	v_lshrrev_b32_e32 v3, 16, v7
	v_mov_b32_e32 v2, v3
.LBB148_30:
	s_or_b64 exec, exec, s[2:3]
	v_cmp_gt_u32_e32 vcc, 32, v5
	v_cndmask_b32_e64 v5, 0, 1, vcc
	v_lshlrev_b32_e32 v5, 5, v5
	v_add_lshl_u32 v5, v5, v4, 2
	ds_bpermute_b32 v5, v5, v3
	v_add_u32_e32 v4, 32, v4
	v_cmp_le_u32_e32 vcc, v4, v6
	s_and_saveexec_b64 s[2:3], vcc
	s_cbranch_execz .LBB148_36
; %bb.31:
	s_waitcnt lgkmcnt(0)
	v_lshlrev_b32_e32 v2, 16, v5
	v_lshlrev_b32_e32 v4, 16, v3
	v_pk_add_f32 v[2:3], v[2:3], v[4:5] op_sel_hi:[0,1]
	s_mov_b32 s4, 0x7f800000
	v_and_b32_e32 v3, 0x7f800000, v2
	v_cmp_ne_u32_e32 vcc, s4, v3
                                        ; implicit-def: $vgpr4
	s_and_saveexec_b64 s[4:5], vcc
	s_xor_b64 s[4:5], exec, s[4:5]
; %bb.32:
	v_bfe_u32 v3, v2, 16, 1
	s_movk_i32 s6, 0x7fff
	v_add3_u32 v4, v2, v3, s6
                                        ; implicit-def: $vgpr2_vgpr3
; %bb.33:
	s_andn2_saveexec_b64 s[4:5], s[4:5]
; %bb.34:
	v_mov_b32_e32 v3, 0
	v_or_b32_e32 v4, 0x10000, v2
	v_cmp_eq_u32_sdwa vcc, v2, v3 src0_sel:WORD_0 src1_sel:DWORD
	v_cndmask_b32_e32 v4, v4, v2, vcc
; %bb.35:
	s_or_b64 exec, exec, s[4:5]
	v_lshrrev_b32_e32 v2, 16, v4
.LBB148_36:
	s_or_b64 exec, exec, s[2:3]
	v_mov_b32_e32 v3, s1
	v_add_co_u32_e32 v0, vcc, s0, v0
	v_addc_co_u32_e32 v1, vcc, v3, v1, vcc
	global_store_short v[0:1], v2, off
	s_endpgm
	.section	.rodata,"a",@progbits
	.p2align	6, 0x0
	.amdhsa_kernel _Z33head_segmented_warp_reduce_kernelI12hip_bfloat16hLj256ELj64EENSt9enable_ifIXsr10test_utilsE35device_test_enabled_for_warp_size_vIXT2_EEEvE4typeEPT_PT0_S5_
		.amdhsa_group_segment_fixed_size 0
		.amdhsa_private_segment_fixed_size 0
		.amdhsa_kernarg_size 280
		.amdhsa_user_sgpr_count 6
		.amdhsa_user_sgpr_private_segment_buffer 1
		.amdhsa_user_sgpr_dispatch_ptr 0
		.amdhsa_user_sgpr_queue_ptr 0
		.amdhsa_user_sgpr_kernarg_segment_ptr 1
		.amdhsa_user_sgpr_dispatch_id 0
		.amdhsa_user_sgpr_flat_scratch_init 0
		.amdhsa_user_sgpr_kernarg_preload_length 0
		.amdhsa_user_sgpr_kernarg_preload_offset 0
		.amdhsa_user_sgpr_private_segment_size 0
		.amdhsa_uses_dynamic_stack 0
		.amdhsa_system_sgpr_private_segment_wavefront_offset 0
		.amdhsa_system_sgpr_workgroup_id_x 1
		.amdhsa_system_sgpr_workgroup_id_y 0
		.amdhsa_system_sgpr_workgroup_id_z 0
		.amdhsa_system_sgpr_workgroup_info 0
		.amdhsa_system_vgpr_workitem_id 0
		.amdhsa_next_free_vgpr 10
		.amdhsa_next_free_sgpr 12
		.amdhsa_accum_offset 12
		.amdhsa_reserve_vcc 1
		.amdhsa_reserve_flat_scratch 0
		.amdhsa_float_round_mode_32 0
		.amdhsa_float_round_mode_16_64 0
		.amdhsa_float_denorm_mode_32 3
		.amdhsa_float_denorm_mode_16_64 3
		.amdhsa_dx10_clamp 1
		.amdhsa_ieee_mode 1
		.amdhsa_fp16_overflow 0
		.amdhsa_tg_split 0
		.amdhsa_exception_fp_ieee_invalid_op 0
		.amdhsa_exception_fp_denorm_src 0
		.amdhsa_exception_fp_ieee_div_zero 0
		.amdhsa_exception_fp_ieee_overflow 0
		.amdhsa_exception_fp_ieee_underflow 0
		.amdhsa_exception_fp_ieee_inexact 0
		.amdhsa_exception_int_div_zero 0
	.end_amdhsa_kernel
	.section	.text._Z33head_segmented_warp_reduce_kernelI12hip_bfloat16hLj256ELj64EENSt9enable_ifIXsr10test_utilsE35device_test_enabled_for_warp_size_vIXT2_EEEvE4typeEPT_PT0_S5_,"axG",@progbits,_Z33head_segmented_warp_reduce_kernelI12hip_bfloat16hLj256ELj64EENSt9enable_ifIXsr10test_utilsE35device_test_enabled_for_warp_size_vIXT2_EEEvE4typeEPT_PT0_S5_,comdat
.Lfunc_end148:
	.size	_Z33head_segmented_warp_reduce_kernelI12hip_bfloat16hLj256ELj64EENSt9enable_ifIXsr10test_utilsE35device_test_enabled_for_warp_size_vIXT2_EEEvE4typeEPT_PT0_S5_, .Lfunc_end148-_Z33head_segmented_warp_reduce_kernelI12hip_bfloat16hLj256ELj64EENSt9enable_ifIXsr10test_utilsE35device_test_enabled_for_warp_size_vIXT2_EEEvE4typeEPT_PT0_S5_
                                        ; -- End function
	.section	.AMDGPU.csdata,"",@progbits
; Kernel info:
; codeLenInByte = 1152
; NumSgprs: 16
; NumVgprs: 10
; NumAgprs: 0
; TotalNumVgprs: 10
; ScratchSize: 0
; MemoryBound: 0
; FloatMode: 240
; IeeeMode: 1
; LDSByteSize: 0 bytes/workgroup (compile time only)
; SGPRBlocks: 1
; VGPRBlocks: 1
; NumSGPRsForWavesPerEU: 16
; NumVGPRsForWavesPerEU: 10
; AccumOffset: 12
; Occupancy: 8
; WaveLimiterHint : 0
; COMPUTE_PGM_RSRC2:SCRATCH_EN: 0
; COMPUTE_PGM_RSRC2:USER_SGPR: 6
; COMPUTE_PGM_RSRC2:TRAP_HANDLER: 0
; COMPUTE_PGM_RSRC2:TGID_X_EN: 1
; COMPUTE_PGM_RSRC2:TGID_Y_EN: 0
; COMPUTE_PGM_RSRC2:TGID_Z_EN: 0
; COMPUTE_PGM_RSRC2:TIDIG_COMP_CNT: 0
; COMPUTE_PGM_RSRC3_GFX90A:ACCUM_OFFSET: 2
; COMPUTE_PGM_RSRC3_GFX90A:TG_SPLIT: 0
	.section	.text._Z33head_segmented_warp_reduce_kernelI12hip_bfloat16hLj128ELj32EENSt9enable_ifIXsr10test_utilsE35device_test_enabled_for_warp_size_vIXT2_EEEvE4typeEPT_PT0_S5_,"axG",@progbits,_Z33head_segmented_warp_reduce_kernelI12hip_bfloat16hLj128ELj32EENSt9enable_ifIXsr10test_utilsE35device_test_enabled_for_warp_size_vIXT2_EEEvE4typeEPT_PT0_S5_,comdat
	.protected	_Z33head_segmented_warp_reduce_kernelI12hip_bfloat16hLj128ELj32EENSt9enable_ifIXsr10test_utilsE35device_test_enabled_for_warp_size_vIXT2_EEEvE4typeEPT_PT0_S5_ ; -- Begin function _Z33head_segmented_warp_reduce_kernelI12hip_bfloat16hLj128ELj32EENSt9enable_ifIXsr10test_utilsE35device_test_enabled_for_warp_size_vIXT2_EEEvE4typeEPT_PT0_S5_
	.globl	_Z33head_segmented_warp_reduce_kernelI12hip_bfloat16hLj128ELj32EENSt9enable_ifIXsr10test_utilsE35device_test_enabled_for_warp_size_vIXT2_EEEvE4typeEPT_PT0_S5_
	.p2align	8
	.type	_Z33head_segmented_warp_reduce_kernelI12hip_bfloat16hLj128ELj32EENSt9enable_ifIXsr10test_utilsE35device_test_enabled_for_warp_size_vIXT2_EEEvE4typeEPT_PT0_S5_,@function
_Z33head_segmented_warp_reduce_kernelI12hip_bfloat16hLj128ELj32EENSt9enable_ifIXsr10test_utilsE35device_test_enabled_for_warp_size_vIXT2_EEEvE4typeEPT_PT0_S5_: ; @_Z33head_segmented_warp_reduce_kernelI12hip_bfloat16hLj128ELj32EENSt9enable_ifIXsr10test_utilsE35device_test_enabled_for_warp_size_vIXT2_EEEvE4typeEPT_PT0_S5_
; %bb.0:
	s_load_dword s2, s[4:5], 0x24
	s_load_dwordx4 s[8:11], s[4:5], 0x0
	s_load_dwordx2 s[0:1], s[4:5], 0x10
	v_mov_b32_e32 v3, 0
	s_waitcnt lgkmcnt(0)
	s_and_b32 s2, s2, 0xffff
	s_mul_i32 s6, s6, s2
	v_add_u32_e32 v2, s6, v0
	v_lshlrev_b64 v[0:1], 1, v[2:3]
	v_mov_b32_e32 v3, s9
	global_load_ubyte v8, v2, s[10:11]
	v_add_co_u32_e32 v2, vcc, s8, v0
	v_addc_co_u32_e32 v3, vcc, v3, v1, vcc
	global_load_ushort v2, v[2:3], off
	v_mbcnt_lo_u32_b32 v3, -1, 0
	v_mbcnt_hi_u32_b32 v4, -1, v3
	v_and_b32_e32 v5, 31, v4
	v_cmp_ne_u32_e32 vcc, 31, v5
	v_addc_co_u32_e32 v3, vcc, 0, v4, vcc
	v_lshlrev_b64 v[6:7], v4, -1
	v_and_b32_e32 v9, 0x60, v4
	v_lshlrev_b32_e32 v10, 2, v3
	s_waitcnt vmcnt(1)
	v_cmp_ne_u16_e32 vcc, 0, v8
	s_lshr_b64 s[2:3], vcc, 1
	v_and_b32_e32 v7, s3, v7
	v_and_b32_e32 v6, s2, v6
	v_lshrrev_b64 v[8:9], v9, v[6:7]
	s_waitcnt vmcnt(0)
	v_and_b32_e32 v3, 0xffff, v2
	ds_bpermute_b32 v7, v10, v3
	v_or_b32_e32 v6, 0x80000000, v8
	v_ffbl_b32_e32 v8, v9
	v_add_u32_e32 v8, 32, v8
	v_ffbl_b32_e32 v6, v6
	v_min_u32_e32 v6, v6, v8
	v_cmp_lt_u32_e32 vcc, v5, v6
	s_and_saveexec_b64 s[2:3], vcc
	s_cbranch_execz .LBB149_6
; %bb.1:
	s_waitcnt lgkmcnt(0)
	v_lshlrev_b32_e32 v2, 16, v7
	v_lshlrev_b32_e32 v8, 16, v3
	v_pk_add_f32 v[2:3], v[2:3], v[8:9] op_sel_hi:[0,1]
	s_mov_b32 s4, 0x7f800000
	v_and_b32_e32 v3, 0x7f800000, v2
	v_cmp_ne_u32_e32 vcc, s4, v3
                                        ; implicit-def: $vgpr7
	s_and_saveexec_b64 s[4:5], vcc
	s_xor_b64 s[4:5], exec, s[4:5]
; %bb.2:
	v_bfe_u32 v3, v2, 16, 1
	s_movk_i32 s6, 0x7fff
	v_add3_u32 v7, v2, v3, s6
                                        ; implicit-def: $vgpr2_vgpr3
; %bb.3:
	s_andn2_saveexec_b64 s[4:5], s[4:5]
; %bb.4:
	v_mov_b32_e32 v3, 0
	v_or_b32_e32 v7, 0x10000, v2
	v_cmp_eq_u32_sdwa vcc, v2, v3 src0_sel:WORD_0 src1_sel:DWORD
	v_cndmask_b32_e32 v7, v7, v2, vcc
; %bb.5:
	s_or_b64 exec, exec, s[4:5]
	v_lshrrev_b32_e32 v3, 16, v7
	v_mov_b32_e32 v2, v3
.LBB149_6:
	s_or_b64 exec, exec, s[2:3]
	v_cmp_gt_u32_e32 vcc, 30, v5
	s_waitcnt lgkmcnt(0)
	v_cndmask_b32_e64 v7, 0, 1, vcc
	v_lshlrev_b32_e32 v7, 1, v7
	v_add_lshl_u32 v7, v7, v4, 2
	ds_bpermute_b32 v7, v7, v3
	v_add_u32_e32 v8, 2, v5
	v_cmp_le_u32_e32 vcc, v8, v6
	s_and_saveexec_b64 s[2:3], vcc
	s_cbranch_execz .LBB149_12
; %bb.7:
	s_waitcnt lgkmcnt(0)
	v_lshlrev_b32_e32 v2, 16, v7
	v_lshlrev_b32_e32 v8, 16, v3
	v_pk_add_f32 v[2:3], v[2:3], v[8:9] op_sel_hi:[0,1]
	s_mov_b32 s4, 0x7f800000
	v_and_b32_e32 v3, 0x7f800000, v2
	v_cmp_ne_u32_e32 vcc, s4, v3
                                        ; implicit-def: $vgpr7
	s_and_saveexec_b64 s[4:5], vcc
	s_xor_b64 s[4:5], exec, s[4:5]
; %bb.8:
	v_bfe_u32 v3, v2, 16, 1
	s_movk_i32 s6, 0x7fff
	v_add3_u32 v7, v2, v3, s6
                                        ; implicit-def: $vgpr2_vgpr3
; %bb.9:
	s_andn2_saveexec_b64 s[4:5], s[4:5]
; %bb.10:
	v_mov_b32_e32 v3, 0
	v_or_b32_e32 v7, 0x10000, v2
	v_cmp_eq_u32_sdwa vcc, v2, v3 src0_sel:WORD_0 src1_sel:DWORD
	v_cndmask_b32_e32 v7, v7, v2, vcc
; %bb.11:
	s_or_b64 exec, exec, s[4:5]
	v_lshrrev_b32_e32 v3, 16, v7
	v_mov_b32_e32 v2, v3
.LBB149_12:
	s_or_b64 exec, exec, s[2:3]
	v_cmp_gt_u32_e32 vcc, 28, v5
	s_waitcnt lgkmcnt(0)
	v_cndmask_b32_e64 v7, 0, 1, vcc
	v_lshlrev_b32_e32 v7, 2, v7
	v_add_lshl_u32 v7, v7, v4, 2
	ds_bpermute_b32 v7, v7, v3
	v_add_u32_e32 v8, 4, v5
	v_cmp_le_u32_e32 vcc, v8, v6
	;; [unrolled: 39-line block ×4, first 2 shown]
	s_and_saveexec_b64 s[2:3], vcc
	s_cbranch_execz .LBB149_30
; %bb.25:
	s_waitcnt lgkmcnt(0)
	v_lshlrev_b32_e32 v2, 16, v4
	v_lshlrev_b32_e32 v4, 16, v3
	v_pk_add_f32 v[2:3], v[2:3], v[4:5] op_sel_hi:[0,1]
	s_mov_b32 s4, 0x7f800000
	v_and_b32_e32 v3, 0x7f800000, v2
	v_cmp_ne_u32_e32 vcc, s4, v3
                                        ; implicit-def: $vgpr4
	s_and_saveexec_b64 s[4:5], vcc
	s_xor_b64 s[4:5], exec, s[4:5]
; %bb.26:
	v_bfe_u32 v3, v2, 16, 1
	s_movk_i32 s6, 0x7fff
	v_add3_u32 v4, v2, v3, s6
                                        ; implicit-def: $vgpr2_vgpr3
; %bb.27:
	s_andn2_saveexec_b64 s[4:5], s[4:5]
; %bb.28:
	v_mov_b32_e32 v3, 0
	v_or_b32_e32 v4, 0x10000, v2
	v_cmp_eq_u32_sdwa vcc, v2, v3 src0_sel:WORD_0 src1_sel:DWORD
	v_cndmask_b32_e32 v4, v4, v2, vcc
; %bb.29:
	s_or_b64 exec, exec, s[4:5]
	v_lshrrev_b32_e32 v2, 16, v4
.LBB149_30:
	s_or_b64 exec, exec, s[2:3]
	v_mov_b32_e32 v3, s1
	v_add_co_u32_e32 v0, vcc, s0, v0
	v_addc_co_u32_e32 v1, vcc, v3, v1, vcc
	global_store_short v[0:1], v2, off
	s_endpgm
	.section	.rodata,"a",@progbits
	.p2align	6, 0x0
	.amdhsa_kernel _Z33head_segmented_warp_reduce_kernelI12hip_bfloat16hLj128ELj32EENSt9enable_ifIXsr10test_utilsE35device_test_enabled_for_warp_size_vIXT2_EEEvE4typeEPT_PT0_S5_
		.amdhsa_group_segment_fixed_size 0
		.amdhsa_private_segment_fixed_size 0
		.amdhsa_kernarg_size 280
		.amdhsa_user_sgpr_count 6
		.amdhsa_user_sgpr_private_segment_buffer 1
		.amdhsa_user_sgpr_dispatch_ptr 0
		.amdhsa_user_sgpr_queue_ptr 0
		.amdhsa_user_sgpr_kernarg_segment_ptr 1
		.amdhsa_user_sgpr_dispatch_id 0
		.amdhsa_user_sgpr_flat_scratch_init 0
		.amdhsa_user_sgpr_kernarg_preload_length 0
		.amdhsa_user_sgpr_kernarg_preload_offset 0
		.amdhsa_user_sgpr_private_segment_size 0
		.amdhsa_uses_dynamic_stack 0
		.amdhsa_system_sgpr_private_segment_wavefront_offset 0
		.amdhsa_system_sgpr_workgroup_id_x 1
		.amdhsa_system_sgpr_workgroup_id_y 0
		.amdhsa_system_sgpr_workgroup_id_z 0
		.amdhsa_system_sgpr_workgroup_info 0
		.amdhsa_system_vgpr_workitem_id 0
		.amdhsa_next_free_vgpr 11
		.amdhsa_next_free_sgpr 12
		.amdhsa_accum_offset 12
		.amdhsa_reserve_vcc 1
		.amdhsa_reserve_flat_scratch 0
		.amdhsa_float_round_mode_32 0
		.amdhsa_float_round_mode_16_64 0
		.amdhsa_float_denorm_mode_32 3
		.amdhsa_float_denorm_mode_16_64 3
		.amdhsa_dx10_clamp 1
		.amdhsa_ieee_mode 1
		.amdhsa_fp16_overflow 0
		.amdhsa_tg_split 0
		.amdhsa_exception_fp_ieee_invalid_op 0
		.amdhsa_exception_fp_denorm_src 0
		.amdhsa_exception_fp_ieee_div_zero 0
		.amdhsa_exception_fp_ieee_overflow 0
		.amdhsa_exception_fp_ieee_underflow 0
		.amdhsa_exception_fp_ieee_inexact 0
		.amdhsa_exception_int_div_zero 0
	.end_amdhsa_kernel
	.section	.text._Z33head_segmented_warp_reduce_kernelI12hip_bfloat16hLj128ELj32EENSt9enable_ifIXsr10test_utilsE35device_test_enabled_for_warp_size_vIXT2_EEEvE4typeEPT_PT0_S5_,"axG",@progbits,_Z33head_segmented_warp_reduce_kernelI12hip_bfloat16hLj128ELj32EENSt9enable_ifIXsr10test_utilsE35device_test_enabled_for_warp_size_vIXT2_EEEvE4typeEPT_PT0_S5_,comdat
.Lfunc_end149:
	.size	_Z33head_segmented_warp_reduce_kernelI12hip_bfloat16hLj128ELj32EENSt9enable_ifIXsr10test_utilsE35device_test_enabled_for_warp_size_vIXT2_EEEvE4typeEPT_PT0_S5_, .Lfunc_end149-_Z33head_segmented_warp_reduce_kernelI12hip_bfloat16hLj128ELj32EENSt9enable_ifIXsr10test_utilsE35device_test_enabled_for_warp_size_vIXT2_EEEvE4typeEPT_PT0_S5_
                                        ; -- End function
	.section	.AMDGPU.csdata,"",@progbits
; Kernel info:
; codeLenInByte = 1004
; NumSgprs: 16
; NumVgprs: 11
; NumAgprs: 0
; TotalNumVgprs: 11
; ScratchSize: 0
; MemoryBound: 0
; FloatMode: 240
; IeeeMode: 1
; LDSByteSize: 0 bytes/workgroup (compile time only)
; SGPRBlocks: 1
; VGPRBlocks: 1
; NumSGPRsForWavesPerEU: 16
; NumVGPRsForWavesPerEU: 11
; AccumOffset: 12
; Occupancy: 8
; WaveLimiterHint : 0
; COMPUTE_PGM_RSRC2:SCRATCH_EN: 0
; COMPUTE_PGM_RSRC2:USER_SGPR: 6
; COMPUTE_PGM_RSRC2:TRAP_HANDLER: 0
; COMPUTE_PGM_RSRC2:TGID_X_EN: 1
; COMPUTE_PGM_RSRC2:TGID_Y_EN: 0
; COMPUTE_PGM_RSRC2:TGID_Z_EN: 0
; COMPUTE_PGM_RSRC2:TIDIG_COMP_CNT: 0
; COMPUTE_PGM_RSRC3_GFX90A:ACCUM_OFFSET: 2
; COMPUTE_PGM_RSRC3_GFX90A:TG_SPLIT: 0
	.section	.text._Z33head_segmented_warp_reduce_kernelI12hip_bfloat16hLj64ELj16EENSt9enable_ifIXsr10test_utilsE35device_test_enabled_for_warp_size_vIXT2_EEEvE4typeEPT_PT0_S5_,"axG",@progbits,_Z33head_segmented_warp_reduce_kernelI12hip_bfloat16hLj64ELj16EENSt9enable_ifIXsr10test_utilsE35device_test_enabled_for_warp_size_vIXT2_EEEvE4typeEPT_PT0_S5_,comdat
	.protected	_Z33head_segmented_warp_reduce_kernelI12hip_bfloat16hLj64ELj16EENSt9enable_ifIXsr10test_utilsE35device_test_enabled_for_warp_size_vIXT2_EEEvE4typeEPT_PT0_S5_ ; -- Begin function _Z33head_segmented_warp_reduce_kernelI12hip_bfloat16hLj64ELj16EENSt9enable_ifIXsr10test_utilsE35device_test_enabled_for_warp_size_vIXT2_EEEvE4typeEPT_PT0_S5_
	.globl	_Z33head_segmented_warp_reduce_kernelI12hip_bfloat16hLj64ELj16EENSt9enable_ifIXsr10test_utilsE35device_test_enabled_for_warp_size_vIXT2_EEEvE4typeEPT_PT0_S5_
	.p2align	8
	.type	_Z33head_segmented_warp_reduce_kernelI12hip_bfloat16hLj64ELj16EENSt9enable_ifIXsr10test_utilsE35device_test_enabled_for_warp_size_vIXT2_EEEvE4typeEPT_PT0_S5_,@function
_Z33head_segmented_warp_reduce_kernelI12hip_bfloat16hLj64ELj16EENSt9enable_ifIXsr10test_utilsE35device_test_enabled_for_warp_size_vIXT2_EEEvE4typeEPT_PT0_S5_: ; @_Z33head_segmented_warp_reduce_kernelI12hip_bfloat16hLj64ELj16EENSt9enable_ifIXsr10test_utilsE35device_test_enabled_for_warp_size_vIXT2_EEEvE4typeEPT_PT0_S5_
; %bb.0:
	s_load_dword s2, s[4:5], 0x24
	s_load_dwordx4 s[8:11], s[4:5], 0x0
	s_load_dwordx2 s[0:1], s[4:5], 0x10
	v_mov_b32_e32 v3, 0
	s_waitcnt lgkmcnt(0)
	s_and_b32 s2, s2, 0xffff
	s_mul_i32 s6, s6, s2
	v_add_u32_e32 v2, s6, v0
	v_lshlrev_b64 v[0:1], 1, v[2:3]
	v_mov_b32_e32 v3, s9
	global_load_ubyte v8, v2, s[10:11]
	v_add_co_u32_e32 v2, vcc, s8, v0
	v_addc_co_u32_e32 v3, vcc, v3, v1, vcc
	global_load_ushort v2, v[2:3], off
	v_mbcnt_lo_u32_b32 v3, -1, 0
	v_mbcnt_hi_u32_b32 v4, -1, v3
	v_and_b32_e32 v5, 15, v4
	v_cmp_ne_u32_e32 vcc, 15, v5
	v_addc_co_u32_e32 v3, vcc, 0, v4, vcc
	v_lshlrev_b64 v[6:7], v4, -1
	v_and_b32_e32 v9, 0x70, v4
	v_lshlrev_b32_e32 v10, 2, v3
	s_waitcnt vmcnt(1)
	v_cmp_ne_u16_e32 vcc, 0, v8
	s_lshr_b64 s[2:3], vcc, 1
	v_and_b32_e32 v7, s3, v7
	v_and_b32_e32 v6, s2, v6
	v_lshrrev_b64 v[8:9], v9, v[6:7]
	s_waitcnt vmcnt(0)
	v_and_b32_e32 v3, 0xffff, v2
	ds_bpermute_b32 v7, v10, v3
	v_or_b32_e32 v6, 0x8000, v8
	v_ffbl_b32_e32 v8, v9
	v_add_u32_e32 v8, 32, v8
	v_ffbl_b32_e32 v6, v6
	v_min_u32_e32 v6, v6, v8
	v_cmp_lt_u32_e32 vcc, v5, v6
	s_and_saveexec_b64 s[2:3], vcc
	s_cbranch_execz .LBB150_6
; %bb.1:
	s_waitcnt lgkmcnt(0)
	v_lshlrev_b32_e32 v2, 16, v7
	v_lshlrev_b32_e32 v8, 16, v3
	v_pk_add_f32 v[2:3], v[2:3], v[8:9] op_sel_hi:[0,1]
	s_mov_b32 s4, 0x7f800000
	v_and_b32_e32 v3, 0x7f800000, v2
	v_cmp_ne_u32_e32 vcc, s4, v3
                                        ; implicit-def: $vgpr7
	s_and_saveexec_b64 s[4:5], vcc
	s_xor_b64 s[4:5], exec, s[4:5]
; %bb.2:
	v_bfe_u32 v3, v2, 16, 1
	s_movk_i32 s6, 0x7fff
	v_add3_u32 v7, v2, v3, s6
                                        ; implicit-def: $vgpr2_vgpr3
; %bb.3:
	s_andn2_saveexec_b64 s[4:5], s[4:5]
; %bb.4:
	v_mov_b32_e32 v3, 0
	v_or_b32_e32 v7, 0x10000, v2
	v_cmp_eq_u32_sdwa vcc, v2, v3 src0_sel:WORD_0 src1_sel:DWORD
	v_cndmask_b32_e32 v7, v7, v2, vcc
; %bb.5:
	s_or_b64 exec, exec, s[4:5]
	v_lshrrev_b32_e32 v3, 16, v7
	v_mov_b32_e32 v2, v3
.LBB150_6:
	s_or_b64 exec, exec, s[2:3]
	v_cmp_gt_u32_e32 vcc, 14, v5
	s_waitcnt lgkmcnt(0)
	v_cndmask_b32_e64 v7, 0, 1, vcc
	v_lshlrev_b32_e32 v7, 1, v7
	v_add_lshl_u32 v7, v7, v4, 2
	ds_bpermute_b32 v7, v7, v3
	v_add_u32_e32 v8, 2, v5
	v_cmp_le_u32_e32 vcc, v8, v6
	s_and_saveexec_b64 s[2:3], vcc
	s_cbranch_execz .LBB150_12
; %bb.7:
	s_waitcnt lgkmcnt(0)
	v_lshlrev_b32_e32 v2, 16, v7
	v_lshlrev_b32_e32 v8, 16, v3
	v_pk_add_f32 v[2:3], v[2:3], v[8:9] op_sel_hi:[0,1]
	s_mov_b32 s4, 0x7f800000
	v_and_b32_e32 v3, 0x7f800000, v2
	v_cmp_ne_u32_e32 vcc, s4, v3
                                        ; implicit-def: $vgpr7
	s_and_saveexec_b64 s[4:5], vcc
	s_xor_b64 s[4:5], exec, s[4:5]
; %bb.8:
	v_bfe_u32 v3, v2, 16, 1
	s_movk_i32 s6, 0x7fff
	v_add3_u32 v7, v2, v3, s6
                                        ; implicit-def: $vgpr2_vgpr3
; %bb.9:
	s_andn2_saveexec_b64 s[4:5], s[4:5]
; %bb.10:
	v_mov_b32_e32 v3, 0
	v_or_b32_e32 v7, 0x10000, v2
	v_cmp_eq_u32_sdwa vcc, v2, v3 src0_sel:WORD_0 src1_sel:DWORD
	v_cndmask_b32_e32 v7, v7, v2, vcc
; %bb.11:
	s_or_b64 exec, exec, s[4:5]
	v_lshrrev_b32_e32 v3, 16, v7
	v_mov_b32_e32 v2, v3
.LBB150_12:
	s_or_b64 exec, exec, s[2:3]
	v_cmp_gt_u32_e32 vcc, 12, v5
	s_waitcnt lgkmcnt(0)
	v_cndmask_b32_e64 v7, 0, 1, vcc
	v_lshlrev_b32_e32 v7, 2, v7
	v_add_lshl_u32 v7, v7, v4, 2
	ds_bpermute_b32 v7, v7, v3
	v_add_u32_e32 v8, 4, v5
	v_cmp_le_u32_e32 vcc, v8, v6
	;; [unrolled: 39-line block ×3, first 2 shown]
	s_and_saveexec_b64 s[2:3], vcc
	s_cbranch_execz .LBB150_24
; %bb.19:
	s_waitcnt lgkmcnt(0)
	v_lshlrev_b32_e32 v2, 16, v4
	v_lshlrev_b32_e32 v4, 16, v3
	v_pk_add_f32 v[2:3], v[2:3], v[4:5] op_sel_hi:[0,1]
	s_mov_b32 s4, 0x7f800000
	v_and_b32_e32 v3, 0x7f800000, v2
	v_cmp_ne_u32_e32 vcc, s4, v3
                                        ; implicit-def: $vgpr4
	s_and_saveexec_b64 s[4:5], vcc
	s_xor_b64 s[4:5], exec, s[4:5]
; %bb.20:
	v_bfe_u32 v3, v2, 16, 1
	s_movk_i32 s6, 0x7fff
	v_add3_u32 v4, v2, v3, s6
                                        ; implicit-def: $vgpr2_vgpr3
; %bb.21:
	s_andn2_saveexec_b64 s[4:5], s[4:5]
; %bb.22:
	v_mov_b32_e32 v3, 0
	v_or_b32_e32 v4, 0x10000, v2
	v_cmp_eq_u32_sdwa vcc, v2, v3 src0_sel:WORD_0 src1_sel:DWORD
	v_cndmask_b32_e32 v4, v4, v2, vcc
; %bb.23:
	s_or_b64 exec, exec, s[4:5]
	v_lshrrev_b32_e32 v2, 16, v4
.LBB150_24:
	s_or_b64 exec, exec, s[2:3]
	v_mov_b32_e32 v3, s1
	v_add_co_u32_e32 v0, vcc, s0, v0
	v_addc_co_u32_e32 v1, vcc, v3, v1, vcc
	global_store_short v[0:1], v2, off
	s_endpgm
	.section	.rodata,"a",@progbits
	.p2align	6, 0x0
	.amdhsa_kernel _Z33head_segmented_warp_reduce_kernelI12hip_bfloat16hLj64ELj16EENSt9enable_ifIXsr10test_utilsE35device_test_enabled_for_warp_size_vIXT2_EEEvE4typeEPT_PT0_S5_
		.amdhsa_group_segment_fixed_size 0
		.amdhsa_private_segment_fixed_size 0
		.amdhsa_kernarg_size 280
		.amdhsa_user_sgpr_count 6
		.amdhsa_user_sgpr_private_segment_buffer 1
		.amdhsa_user_sgpr_dispatch_ptr 0
		.amdhsa_user_sgpr_queue_ptr 0
		.amdhsa_user_sgpr_kernarg_segment_ptr 1
		.amdhsa_user_sgpr_dispatch_id 0
		.amdhsa_user_sgpr_flat_scratch_init 0
		.amdhsa_user_sgpr_kernarg_preload_length 0
		.amdhsa_user_sgpr_kernarg_preload_offset 0
		.amdhsa_user_sgpr_private_segment_size 0
		.amdhsa_uses_dynamic_stack 0
		.amdhsa_system_sgpr_private_segment_wavefront_offset 0
		.amdhsa_system_sgpr_workgroup_id_x 1
		.amdhsa_system_sgpr_workgroup_id_y 0
		.amdhsa_system_sgpr_workgroup_id_z 0
		.amdhsa_system_sgpr_workgroup_info 0
		.amdhsa_system_vgpr_workitem_id 0
		.amdhsa_next_free_vgpr 11
		.amdhsa_next_free_sgpr 12
		.amdhsa_accum_offset 12
		.amdhsa_reserve_vcc 1
		.amdhsa_reserve_flat_scratch 0
		.amdhsa_float_round_mode_32 0
		.amdhsa_float_round_mode_16_64 0
		.amdhsa_float_denorm_mode_32 3
		.amdhsa_float_denorm_mode_16_64 3
		.amdhsa_dx10_clamp 1
		.amdhsa_ieee_mode 1
		.amdhsa_fp16_overflow 0
		.amdhsa_tg_split 0
		.amdhsa_exception_fp_ieee_invalid_op 0
		.amdhsa_exception_fp_denorm_src 0
		.amdhsa_exception_fp_ieee_div_zero 0
		.amdhsa_exception_fp_ieee_overflow 0
		.amdhsa_exception_fp_ieee_underflow 0
		.amdhsa_exception_fp_ieee_inexact 0
		.amdhsa_exception_int_div_zero 0
	.end_amdhsa_kernel
	.section	.text._Z33head_segmented_warp_reduce_kernelI12hip_bfloat16hLj64ELj16EENSt9enable_ifIXsr10test_utilsE35device_test_enabled_for_warp_size_vIXT2_EEEvE4typeEPT_PT0_S5_,"axG",@progbits,_Z33head_segmented_warp_reduce_kernelI12hip_bfloat16hLj64ELj16EENSt9enable_ifIXsr10test_utilsE35device_test_enabled_for_warp_size_vIXT2_EEEvE4typeEPT_PT0_S5_,comdat
.Lfunc_end150:
	.size	_Z33head_segmented_warp_reduce_kernelI12hip_bfloat16hLj64ELj16EENSt9enable_ifIXsr10test_utilsE35device_test_enabled_for_warp_size_vIXT2_EEEvE4typeEPT_PT0_S5_, .Lfunc_end150-_Z33head_segmented_warp_reduce_kernelI12hip_bfloat16hLj64ELj16EENSt9enable_ifIXsr10test_utilsE35device_test_enabled_for_warp_size_vIXT2_EEEvE4typeEPT_PT0_S5_
                                        ; -- End function
	.section	.AMDGPU.csdata,"",@progbits
; Kernel info:
; codeLenInByte = 840
; NumSgprs: 16
; NumVgprs: 11
; NumAgprs: 0
; TotalNumVgprs: 11
; ScratchSize: 0
; MemoryBound: 0
; FloatMode: 240
; IeeeMode: 1
; LDSByteSize: 0 bytes/workgroup (compile time only)
; SGPRBlocks: 1
; VGPRBlocks: 1
; NumSGPRsForWavesPerEU: 16
; NumVGPRsForWavesPerEU: 11
; AccumOffset: 12
; Occupancy: 8
; WaveLimiterHint : 0
; COMPUTE_PGM_RSRC2:SCRATCH_EN: 0
; COMPUTE_PGM_RSRC2:USER_SGPR: 6
; COMPUTE_PGM_RSRC2:TRAP_HANDLER: 0
; COMPUTE_PGM_RSRC2:TGID_X_EN: 1
; COMPUTE_PGM_RSRC2:TGID_Y_EN: 0
; COMPUTE_PGM_RSRC2:TGID_Z_EN: 0
; COMPUTE_PGM_RSRC2:TIDIG_COMP_CNT: 0
; COMPUTE_PGM_RSRC3_GFX90A:ACCUM_OFFSET: 2
; COMPUTE_PGM_RSRC3_GFX90A:TG_SPLIT: 0
	.section	.text._Z33head_segmented_warp_reduce_kernelI12hip_bfloat16hLj32ELj8EENSt9enable_ifIXsr10test_utilsE35device_test_enabled_for_warp_size_vIXT2_EEEvE4typeEPT_PT0_S5_,"axG",@progbits,_Z33head_segmented_warp_reduce_kernelI12hip_bfloat16hLj32ELj8EENSt9enable_ifIXsr10test_utilsE35device_test_enabled_for_warp_size_vIXT2_EEEvE4typeEPT_PT0_S5_,comdat
	.protected	_Z33head_segmented_warp_reduce_kernelI12hip_bfloat16hLj32ELj8EENSt9enable_ifIXsr10test_utilsE35device_test_enabled_for_warp_size_vIXT2_EEEvE4typeEPT_PT0_S5_ ; -- Begin function _Z33head_segmented_warp_reduce_kernelI12hip_bfloat16hLj32ELj8EENSt9enable_ifIXsr10test_utilsE35device_test_enabled_for_warp_size_vIXT2_EEEvE4typeEPT_PT0_S5_
	.globl	_Z33head_segmented_warp_reduce_kernelI12hip_bfloat16hLj32ELj8EENSt9enable_ifIXsr10test_utilsE35device_test_enabled_for_warp_size_vIXT2_EEEvE4typeEPT_PT0_S5_
	.p2align	8
	.type	_Z33head_segmented_warp_reduce_kernelI12hip_bfloat16hLj32ELj8EENSt9enable_ifIXsr10test_utilsE35device_test_enabled_for_warp_size_vIXT2_EEEvE4typeEPT_PT0_S5_,@function
_Z33head_segmented_warp_reduce_kernelI12hip_bfloat16hLj32ELj8EENSt9enable_ifIXsr10test_utilsE35device_test_enabled_for_warp_size_vIXT2_EEEvE4typeEPT_PT0_S5_: ; @_Z33head_segmented_warp_reduce_kernelI12hip_bfloat16hLj32ELj8EENSt9enable_ifIXsr10test_utilsE35device_test_enabled_for_warp_size_vIXT2_EEEvE4typeEPT_PT0_S5_
; %bb.0:
	s_load_dword s2, s[4:5], 0x24
	s_load_dwordx4 s[8:11], s[4:5], 0x0
	s_load_dwordx2 s[0:1], s[4:5], 0x10
	v_mov_b32_e32 v3, 0
	s_waitcnt lgkmcnt(0)
	s_and_b32 s2, s2, 0xffff
	s_mul_i32 s6, s6, s2
	v_add_u32_e32 v2, s6, v0
	v_lshlrev_b64 v[0:1], 1, v[2:3]
	v_mov_b32_e32 v3, s9
	global_load_ubyte v8, v2, s[10:11]
	v_add_co_u32_e32 v2, vcc, s8, v0
	v_addc_co_u32_e32 v3, vcc, v3, v1, vcc
	global_load_ushort v2, v[2:3], off
	v_mbcnt_lo_u32_b32 v3, -1, 0
	v_mbcnt_hi_u32_b32 v4, -1, v3
	v_and_b32_e32 v5, 7, v4
	v_cmp_ne_u32_e32 vcc, 7, v5
	v_addc_co_u32_e32 v3, vcc, 0, v4, vcc
	v_lshlrev_b64 v[6:7], v4, -1
	v_and_b32_e32 v9, 0x78, v4
	v_lshlrev_b32_e32 v10, 2, v3
	s_waitcnt vmcnt(1)
	v_cmp_ne_u16_e32 vcc, 0, v8
	s_lshr_b64 s[2:3], vcc, 1
	v_and_b32_e32 v7, s3, v7
	v_and_b32_e32 v6, s2, v6
	v_lshrrev_b64 v[8:9], v9, v[6:7]
	s_waitcnt vmcnt(0)
	v_and_b32_e32 v3, 0xffff, v2
	ds_bpermute_b32 v7, v10, v3
	v_or_b32_e32 v6, 0x80, v8
	v_ffbl_b32_e32 v8, v9
	v_add_u32_e32 v8, 32, v8
	v_ffbl_b32_e32 v6, v6
	v_min_u32_e32 v6, v6, v8
	v_cmp_lt_u32_e32 vcc, v5, v6
	s_and_saveexec_b64 s[2:3], vcc
	s_cbranch_execz .LBB151_6
; %bb.1:
	s_waitcnt lgkmcnt(0)
	v_lshlrev_b32_e32 v2, 16, v7
	v_lshlrev_b32_e32 v8, 16, v3
	v_pk_add_f32 v[2:3], v[2:3], v[8:9] op_sel_hi:[0,1]
	s_mov_b32 s4, 0x7f800000
	v_and_b32_e32 v3, 0x7f800000, v2
	v_cmp_ne_u32_e32 vcc, s4, v3
                                        ; implicit-def: $vgpr7
	s_and_saveexec_b64 s[4:5], vcc
	s_xor_b64 s[4:5], exec, s[4:5]
; %bb.2:
	v_bfe_u32 v3, v2, 16, 1
	s_movk_i32 s6, 0x7fff
	v_add3_u32 v7, v2, v3, s6
                                        ; implicit-def: $vgpr2_vgpr3
; %bb.3:
	s_andn2_saveexec_b64 s[4:5], s[4:5]
; %bb.4:
	v_mov_b32_e32 v3, 0
	v_or_b32_e32 v7, 0x10000, v2
	v_cmp_eq_u32_sdwa vcc, v2, v3 src0_sel:WORD_0 src1_sel:DWORD
	v_cndmask_b32_e32 v7, v7, v2, vcc
; %bb.5:
	s_or_b64 exec, exec, s[4:5]
	v_lshrrev_b32_e32 v3, 16, v7
	v_mov_b32_e32 v2, v3
.LBB151_6:
	s_or_b64 exec, exec, s[2:3]
	v_cmp_gt_u32_e32 vcc, 6, v5
	s_waitcnt lgkmcnt(0)
	v_cndmask_b32_e64 v7, 0, 1, vcc
	v_lshlrev_b32_e32 v7, 1, v7
	v_add_lshl_u32 v7, v7, v4, 2
	ds_bpermute_b32 v7, v7, v3
	v_add_u32_e32 v8, 2, v5
	v_cmp_le_u32_e32 vcc, v8, v6
	s_and_saveexec_b64 s[2:3], vcc
	s_cbranch_execz .LBB151_12
; %bb.7:
	s_waitcnt lgkmcnt(0)
	v_lshlrev_b32_e32 v2, 16, v7
	v_lshlrev_b32_e32 v8, 16, v3
	v_pk_add_f32 v[2:3], v[2:3], v[8:9] op_sel_hi:[0,1]
	s_mov_b32 s4, 0x7f800000
	v_and_b32_e32 v3, 0x7f800000, v2
	v_cmp_ne_u32_e32 vcc, s4, v3
                                        ; implicit-def: $vgpr7
	s_and_saveexec_b64 s[4:5], vcc
	s_xor_b64 s[4:5], exec, s[4:5]
; %bb.8:
	v_bfe_u32 v3, v2, 16, 1
	s_movk_i32 s6, 0x7fff
	v_add3_u32 v7, v2, v3, s6
                                        ; implicit-def: $vgpr2_vgpr3
; %bb.9:
	s_andn2_saveexec_b64 s[4:5], s[4:5]
; %bb.10:
	v_mov_b32_e32 v3, 0
	v_or_b32_e32 v7, 0x10000, v2
	v_cmp_eq_u32_sdwa vcc, v2, v3 src0_sel:WORD_0 src1_sel:DWORD
	v_cndmask_b32_e32 v7, v7, v2, vcc
; %bb.11:
	s_or_b64 exec, exec, s[4:5]
	v_lshrrev_b32_e32 v3, 16, v7
	v_mov_b32_e32 v2, v3
.LBB151_12:
	s_or_b64 exec, exec, s[2:3]
	v_cmp_gt_u32_e32 vcc, 4, v5
	s_waitcnt lgkmcnt(0)
	v_cndmask_b32_e64 v7, 0, 1, vcc
	v_lshlrev_b32_e32 v7, 2, v7
	v_add_lshl_u32 v4, v7, v4, 2
	ds_bpermute_b32 v4, v4, v3
	v_add_u32_e32 v5, 4, v5
	v_cmp_le_u32_e32 vcc, v5, v6
	s_and_saveexec_b64 s[2:3], vcc
	s_cbranch_execz .LBB151_18
; %bb.13:
	s_waitcnt lgkmcnt(0)
	v_lshlrev_b32_e32 v2, 16, v4
	v_lshlrev_b32_e32 v4, 16, v3
	v_pk_add_f32 v[2:3], v[2:3], v[4:5] op_sel_hi:[0,1]
	s_mov_b32 s4, 0x7f800000
	v_and_b32_e32 v3, 0x7f800000, v2
	v_cmp_ne_u32_e32 vcc, s4, v3
                                        ; implicit-def: $vgpr4
	s_and_saveexec_b64 s[4:5], vcc
	s_xor_b64 s[4:5], exec, s[4:5]
; %bb.14:
	v_bfe_u32 v3, v2, 16, 1
	s_movk_i32 s6, 0x7fff
	v_add3_u32 v4, v2, v3, s6
                                        ; implicit-def: $vgpr2_vgpr3
; %bb.15:
	s_andn2_saveexec_b64 s[4:5], s[4:5]
; %bb.16:
	v_mov_b32_e32 v3, 0
	v_or_b32_e32 v4, 0x10000, v2
	v_cmp_eq_u32_sdwa vcc, v2, v3 src0_sel:WORD_0 src1_sel:DWORD
	v_cndmask_b32_e32 v4, v4, v2, vcc
; %bb.17:
	s_or_b64 exec, exec, s[4:5]
	v_lshrrev_b32_e32 v2, 16, v4
.LBB151_18:
	s_or_b64 exec, exec, s[2:3]
	v_mov_b32_e32 v3, s1
	v_add_co_u32_e32 v0, vcc, s0, v0
	v_addc_co_u32_e32 v1, vcc, v3, v1, vcc
	global_store_short v[0:1], v2, off
	s_endpgm
	.section	.rodata,"a",@progbits
	.p2align	6, 0x0
	.amdhsa_kernel _Z33head_segmented_warp_reduce_kernelI12hip_bfloat16hLj32ELj8EENSt9enable_ifIXsr10test_utilsE35device_test_enabled_for_warp_size_vIXT2_EEEvE4typeEPT_PT0_S5_
		.amdhsa_group_segment_fixed_size 0
		.amdhsa_private_segment_fixed_size 0
		.amdhsa_kernarg_size 280
		.amdhsa_user_sgpr_count 6
		.amdhsa_user_sgpr_private_segment_buffer 1
		.amdhsa_user_sgpr_dispatch_ptr 0
		.amdhsa_user_sgpr_queue_ptr 0
		.amdhsa_user_sgpr_kernarg_segment_ptr 1
		.amdhsa_user_sgpr_dispatch_id 0
		.amdhsa_user_sgpr_flat_scratch_init 0
		.amdhsa_user_sgpr_kernarg_preload_length 0
		.amdhsa_user_sgpr_kernarg_preload_offset 0
		.amdhsa_user_sgpr_private_segment_size 0
		.amdhsa_uses_dynamic_stack 0
		.amdhsa_system_sgpr_private_segment_wavefront_offset 0
		.amdhsa_system_sgpr_workgroup_id_x 1
		.amdhsa_system_sgpr_workgroup_id_y 0
		.amdhsa_system_sgpr_workgroup_id_z 0
		.amdhsa_system_sgpr_workgroup_info 0
		.amdhsa_system_vgpr_workitem_id 0
		.amdhsa_next_free_vgpr 11
		.amdhsa_next_free_sgpr 12
		.amdhsa_accum_offset 12
		.amdhsa_reserve_vcc 1
		.amdhsa_reserve_flat_scratch 0
		.amdhsa_float_round_mode_32 0
		.amdhsa_float_round_mode_16_64 0
		.amdhsa_float_denorm_mode_32 3
		.amdhsa_float_denorm_mode_16_64 3
		.amdhsa_dx10_clamp 1
		.amdhsa_ieee_mode 1
		.amdhsa_fp16_overflow 0
		.amdhsa_tg_split 0
		.amdhsa_exception_fp_ieee_invalid_op 0
		.amdhsa_exception_fp_denorm_src 0
		.amdhsa_exception_fp_ieee_div_zero 0
		.amdhsa_exception_fp_ieee_overflow 0
		.amdhsa_exception_fp_ieee_underflow 0
		.amdhsa_exception_fp_ieee_inexact 0
		.amdhsa_exception_int_div_zero 0
	.end_amdhsa_kernel
	.section	.text._Z33head_segmented_warp_reduce_kernelI12hip_bfloat16hLj32ELj8EENSt9enable_ifIXsr10test_utilsE35device_test_enabled_for_warp_size_vIXT2_EEEvE4typeEPT_PT0_S5_,"axG",@progbits,_Z33head_segmented_warp_reduce_kernelI12hip_bfloat16hLj32ELj8EENSt9enable_ifIXsr10test_utilsE35device_test_enabled_for_warp_size_vIXT2_EEEvE4typeEPT_PT0_S5_,comdat
.Lfunc_end151:
	.size	_Z33head_segmented_warp_reduce_kernelI12hip_bfloat16hLj32ELj8EENSt9enable_ifIXsr10test_utilsE35device_test_enabled_for_warp_size_vIXT2_EEEvE4typeEPT_PT0_S5_, .Lfunc_end151-_Z33head_segmented_warp_reduce_kernelI12hip_bfloat16hLj32ELj8EENSt9enable_ifIXsr10test_utilsE35device_test_enabled_for_warp_size_vIXT2_EEEvE4typeEPT_PT0_S5_
                                        ; -- End function
	.section	.AMDGPU.csdata,"",@progbits
; Kernel info:
; codeLenInByte = 676
; NumSgprs: 16
; NumVgprs: 11
; NumAgprs: 0
; TotalNumVgprs: 11
; ScratchSize: 0
; MemoryBound: 0
; FloatMode: 240
; IeeeMode: 1
; LDSByteSize: 0 bytes/workgroup (compile time only)
; SGPRBlocks: 1
; VGPRBlocks: 1
; NumSGPRsForWavesPerEU: 16
; NumVGPRsForWavesPerEU: 11
; AccumOffset: 12
; Occupancy: 8
; WaveLimiterHint : 0
; COMPUTE_PGM_RSRC2:SCRATCH_EN: 0
; COMPUTE_PGM_RSRC2:USER_SGPR: 6
; COMPUTE_PGM_RSRC2:TRAP_HANDLER: 0
; COMPUTE_PGM_RSRC2:TGID_X_EN: 1
; COMPUTE_PGM_RSRC2:TGID_Y_EN: 0
; COMPUTE_PGM_RSRC2:TGID_Z_EN: 0
; COMPUTE_PGM_RSRC2:TIDIG_COMP_CNT: 0
; COMPUTE_PGM_RSRC3_GFX90A:ACCUM_OFFSET: 2
; COMPUTE_PGM_RSRC3_GFX90A:TG_SPLIT: 0
	.section	.text._Z33head_segmented_warp_reduce_kernelI12hip_bfloat16hLj64ELj8EENSt9enable_ifIXsr10test_utilsE35device_test_enabled_for_warp_size_vIXT2_EEEvE4typeEPT_PT0_S5_,"axG",@progbits,_Z33head_segmented_warp_reduce_kernelI12hip_bfloat16hLj64ELj8EENSt9enable_ifIXsr10test_utilsE35device_test_enabled_for_warp_size_vIXT2_EEEvE4typeEPT_PT0_S5_,comdat
	.protected	_Z33head_segmented_warp_reduce_kernelI12hip_bfloat16hLj64ELj8EENSt9enable_ifIXsr10test_utilsE35device_test_enabled_for_warp_size_vIXT2_EEEvE4typeEPT_PT0_S5_ ; -- Begin function _Z33head_segmented_warp_reduce_kernelI12hip_bfloat16hLj64ELj8EENSt9enable_ifIXsr10test_utilsE35device_test_enabled_for_warp_size_vIXT2_EEEvE4typeEPT_PT0_S5_
	.globl	_Z33head_segmented_warp_reduce_kernelI12hip_bfloat16hLj64ELj8EENSt9enable_ifIXsr10test_utilsE35device_test_enabled_for_warp_size_vIXT2_EEEvE4typeEPT_PT0_S5_
	.p2align	8
	.type	_Z33head_segmented_warp_reduce_kernelI12hip_bfloat16hLj64ELj8EENSt9enable_ifIXsr10test_utilsE35device_test_enabled_for_warp_size_vIXT2_EEEvE4typeEPT_PT0_S5_,@function
_Z33head_segmented_warp_reduce_kernelI12hip_bfloat16hLj64ELj8EENSt9enable_ifIXsr10test_utilsE35device_test_enabled_for_warp_size_vIXT2_EEEvE4typeEPT_PT0_S5_: ; @_Z33head_segmented_warp_reduce_kernelI12hip_bfloat16hLj64ELj8EENSt9enable_ifIXsr10test_utilsE35device_test_enabled_for_warp_size_vIXT2_EEEvE4typeEPT_PT0_S5_
; %bb.0:
	s_load_dword s2, s[4:5], 0x24
	s_load_dwordx4 s[8:11], s[4:5], 0x0
	s_load_dwordx2 s[0:1], s[4:5], 0x10
	v_mov_b32_e32 v3, 0
	s_waitcnt lgkmcnt(0)
	s_and_b32 s2, s2, 0xffff
	s_mul_i32 s6, s6, s2
	v_add_u32_e32 v2, s6, v0
	v_lshlrev_b64 v[0:1], 1, v[2:3]
	v_mov_b32_e32 v3, s9
	global_load_ubyte v8, v2, s[10:11]
	v_add_co_u32_e32 v2, vcc, s8, v0
	v_addc_co_u32_e32 v3, vcc, v3, v1, vcc
	global_load_ushort v2, v[2:3], off
	v_mbcnt_lo_u32_b32 v3, -1, 0
	v_mbcnt_hi_u32_b32 v4, -1, v3
	v_and_b32_e32 v5, 7, v4
	v_cmp_ne_u32_e32 vcc, 7, v5
	v_addc_co_u32_e32 v3, vcc, 0, v4, vcc
	v_lshlrev_b64 v[6:7], v4, -1
	v_and_b32_e32 v9, 0x78, v4
	v_lshlrev_b32_e32 v10, 2, v3
	s_waitcnt vmcnt(1)
	v_cmp_ne_u16_e32 vcc, 0, v8
	s_lshr_b64 s[2:3], vcc, 1
	v_and_b32_e32 v7, s3, v7
	v_and_b32_e32 v6, s2, v6
	v_lshrrev_b64 v[8:9], v9, v[6:7]
	s_waitcnt vmcnt(0)
	v_and_b32_e32 v3, 0xffff, v2
	ds_bpermute_b32 v7, v10, v3
	v_or_b32_e32 v6, 0x80, v8
	v_ffbl_b32_e32 v8, v9
	v_add_u32_e32 v8, 32, v8
	v_ffbl_b32_e32 v6, v6
	v_min_u32_e32 v6, v6, v8
	v_cmp_lt_u32_e32 vcc, v5, v6
	s_and_saveexec_b64 s[2:3], vcc
	s_cbranch_execz .LBB152_6
; %bb.1:
	s_waitcnt lgkmcnt(0)
	v_lshlrev_b32_e32 v2, 16, v7
	v_lshlrev_b32_e32 v8, 16, v3
	v_pk_add_f32 v[2:3], v[2:3], v[8:9] op_sel_hi:[0,1]
	s_mov_b32 s4, 0x7f800000
	v_and_b32_e32 v3, 0x7f800000, v2
	v_cmp_ne_u32_e32 vcc, s4, v3
                                        ; implicit-def: $vgpr7
	s_and_saveexec_b64 s[4:5], vcc
	s_xor_b64 s[4:5], exec, s[4:5]
; %bb.2:
	v_bfe_u32 v3, v2, 16, 1
	s_movk_i32 s6, 0x7fff
	v_add3_u32 v7, v2, v3, s6
                                        ; implicit-def: $vgpr2_vgpr3
; %bb.3:
	s_andn2_saveexec_b64 s[4:5], s[4:5]
; %bb.4:
	v_mov_b32_e32 v3, 0
	v_or_b32_e32 v7, 0x10000, v2
	v_cmp_eq_u32_sdwa vcc, v2, v3 src0_sel:WORD_0 src1_sel:DWORD
	v_cndmask_b32_e32 v7, v7, v2, vcc
; %bb.5:
	s_or_b64 exec, exec, s[4:5]
	v_lshrrev_b32_e32 v3, 16, v7
	v_mov_b32_e32 v2, v3
.LBB152_6:
	s_or_b64 exec, exec, s[2:3]
	v_cmp_gt_u32_e32 vcc, 6, v5
	s_waitcnt lgkmcnt(0)
	v_cndmask_b32_e64 v7, 0, 1, vcc
	v_lshlrev_b32_e32 v7, 1, v7
	v_add_lshl_u32 v7, v7, v4, 2
	ds_bpermute_b32 v7, v7, v3
	v_add_u32_e32 v8, 2, v5
	v_cmp_le_u32_e32 vcc, v8, v6
	s_and_saveexec_b64 s[2:3], vcc
	s_cbranch_execz .LBB152_12
; %bb.7:
	s_waitcnt lgkmcnt(0)
	v_lshlrev_b32_e32 v2, 16, v7
	v_lshlrev_b32_e32 v8, 16, v3
	v_pk_add_f32 v[2:3], v[2:3], v[8:9] op_sel_hi:[0,1]
	s_mov_b32 s4, 0x7f800000
	v_and_b32_e32 v3, 0x7f800000, v2
	v_cmp_ne_u32_e32 vcc, s4, v3
                                        ; implicit-def: $vgpr7
	s_and_saveexec_b64 s[4:5], vcc
	s_xor_b64 s[4:5], exec, s[4:5]
; %bb.8:
	v_bfe_u32 v3, v2, 16, 1
	s_movk_i32 s6, 0x7fff
	v_add3_u32 v7, v2, v3, s6
                                        ; implicit-def: $vgpr2_vgpr3
; %bb.9:
	s_andn2_saveexec_b64 s[4:5], s[4:5]
; %bb.10:
	v_mov_b32_e32 v3, 0
	v_or_b32_e32 v7, 0x10000, v2
	v_cmp_eq_u32_sdwa vcc, v2, v3 src0_sel:WORD_0 src1_sel:DWORD
	v_cndmask_b32_e32 v7, v7, v2, vcc
; %bb.11:
	s_or_b64 exec, exec, s[4:5]
	v_lshrrev_b32_e32 v3, 16, v7
	v_mov_b32_e32 v2, v3
.LBB152_12:
	s_or_b64 exec, exec, s[2:3]
	v_cmp_gt_u32_e32 vcc, 4, v5
	s_waitcnt lgkmcnt(0)
	v_cndmask_b32_e64 v7, 0, 1, vcc
	v_lshlrev_b32_e32 v7, 2, v7
	v_add_lshl_u32 v4, v7, v4, 2
	ds_bpermute_b32 v4, v4, v3
	v_add_u32_e32 v5, 4, v5
	v_cmp_le_u32_e32 vcc, v5, v6
	s_and_saveexec_b64 s[2:3], vcc
	s_cbranch_execz .LBB152_18
; %bb.13:
	s_waitcnt lgkmcnt(0)
	v_lshlrev_b32_e32 v2, 16, v4
	v_lshlrev_b32_e32 v4, 16, v3
	v_pk_add_f32 v[2:3], v[2:3], v[4:5] op_sel_hi:[0,1]
	s_mov_b32 s4, 0x7f800000
	v_and_b32_e32 v3, 0x7f800000, v2
	v_cmp_ne_u32_e32 vcc, s4, v3
                                        ; implicit-def: $vgpr4
	s_and_saveexec_b64 s[4:5], vcc
	s_xor_b64 s[4:5], exec, s[4:5]
; %bb.14:
	v_bfe_u32 v3, v2, 16, 1
	s_movk_i32 s6, 0x7fff
	v_add3_u32 v4, v2, v3, s6
                                        ; implicit-def: $vgpr2_vgpr3
; %bb.15:
	s_andn2_saveexec_b64 s[4:5], s[4:5]
; %bb.16:
	v_mov_b32_e32 v3, 0
	v_or_b32_e32 v4, 0x10000, v2
	v_cmp_eq_u32_sdwa vcc, v2, v3 src0_sel:WORD_0 src1_sel:DWORD
	v_cndmask_b32_e32 v4, v4, v2, vcc
; %bb.17:
	s_or_b64 exec, exec, s[4:5]
	v_lshrrev_b32_e32 v2, 16, v4
.LBB152_18:
	s_or_b64 exec, exec, s[2:3]
	v_mov_b32_e32 v3, s1
	v_add_co_u32_e32 v0, vcc, s0, v0
	v_addc_co_u32_e32 v1, vcc, v3, v1, vcc
	global_store_short v[0:1], v2, off
	s_endpgm
	.section	.rodata,"a",@progbits
	.p2align	6, 0x0
	.amdhsa_kernel _Z33head_segmented_warp_reduce_kernelI12hip_bfloat16hLj64ELj8EENSt9enable_ifIXsr10test_utilsE35device_test_enabled_for_warp_size_vIXT2_EEEvE4typeEPT_PT0_S5_
		.amdhsa_group_segment_fixed_size 0
		.amdhsa_private_segment_fixed_size 0
		.amdhsa_kernarg_size 280
		.amdhsa_user_sgpr_count 6
		.amdhsa_user_sgpr_private_segment_buffer 1
		.amdhsa_user_sgpr_dispatch_ptr 0
		.amdhsa_user_sgpr_queue_ptr 0
		.amdhsa_user_sgpr_kernarg_segment_ptr 1
		.amdhsa_user_sgpr_dispatch_id 0
		.amdhsa_user_sgpr_flat_scratch_init 0
		.amdhsa_user_sgpr_kernarg_preload_length 0
		.amdhsa_user_sgpr_kernarg_preload_offset 0
		.amdhsa_user_sgpr_private_segment_size 0
		.amdhsa_uses_dynamic_stack 0
		.amdhsa_system_sgpr_private_segment_wavefront_offset 0
		.amdhsa_system_sgpr_workgroup_id_x 1
		.amdhsa_system_sgpr_workgroup_id_y 0
		.amdhsa_system_sgpr_workgroup_id_z 0
		.amdhsa_system_sgpr_workgroup_info 0
		.amdhsa_system_vgpr_workitem_id 0
		.amdhsa_next_free_vgpr 11
		.amdhsa_next_free_sgpr 12
		.amdhsa_accum_offset 12
		.amdhsa_reserve_vcc 1
		.amdhsa_reserve_flat_scratch 0
		.amdhsa_float_round_mode_32 0
		.amdhsa_float_round_mode_16_64 0
		.amdhsa_float_denorm_mode_32 3
		.amdhsa_float_denorm_mode_16_64 3
		.amdhsa_dx10_clamp 1
		.amdhsa_ieee_mode 1
		.amdhsa_fp16_overflow 0
		.amdhsa_tg_split 0
		.amdhsa_exception_fp_ieee_invalid_op 0
		.amdhsa_exception_fp_denorm_src 0
		.amdhsa_exception_fp_ieee_div_zero 0
		.amdhsa_exception_fp_ieee_overflow 0
		.amdhsa_exception_fp_ieee_underflow 0
		.amdhsa_exception_fp_ieee_inexact 0
		.amdhsa_exception_int_div_zero 0
	.end_amdhsa_kernel
	.section	.text._Z33head_segmented_warp_reduce_kernelI12hip_bfloat16hLj64ELj8EENSt9enable_ifIXsr10test_utilsE35device_test_enabled_for_warp_size_vIXT2_EEEvE4typeEPT_PT0_S5_,"axG",@progbits,_Z33head_segmented_warp_reduce_kernelI12hip_bfloat16hLj64ELj8EENSt9enable_ifIXsr10test_utilsE35device_test_enabled_for_warp_size_vIXT2_EEEvE4typeEPT_PT0_S5_,comdat
.Lfunc_end152:
	.size	_Z33head_segmented_warp_reduce_kernelI12hip_bfloat16hLj64ELj8EENSt9enable_ifIXsr10test_utilsE35device_test_enabled_for_warp_size_vIXT2_EEEvE4typeEPT_PT0_S5_, .Lfunc_end152-_Z33head_segmented_warp_reduce_kernelI12hip_bfloat16hLj64ELj8EENSt9enable_ifIXsr10test_utilsE35device_test_enabled_for_warp_size_vIXT2_EEEvE4typeEPT_PT0_S5_
                                        ; -- End function
	.section	.AMDGPU.csdata,"",@progbits
; Kernel info:
; codeLenInByte = 676
; NumSgprs: 16
; NumVgprs: 11
; NumAgprs: 0
; TotalNumVgprs: 11
; ScratchSize: 0
; MemoryBound: 0
; FloatMode: 240
; IeeeMode: 1
; LDSByteSize: 0 bytes/workgroup (compile time only)
; SGPRBlocks: 1
; VGPRBlocks: 1
; NumSGPRsForWavesPerEU: 16
; NumVGPRsForWavesPerEU: 11
; AccumOffset: 12
; Occupancy: 8
; WaveLimiterHint : 0
; COMPUTE_PGM_RSRC2:SCRATCH_EN: 0
; COMPUTE_PGM_RSRC2:USER_SGPR: 6
; COMPUTE_PGM_RSRC2:TRAP_HANDLER: 0
; COMPUTE_PGM_RSRC2:TGID_X_EN: 1
; COMPUTE_PGM_RSRC2:TGID_Y_EN: 0
; COMPUTE_PGM_RSRC2:TGID_Z_EN: 0
; COMPUTE_PGM_RSRC2:TIDIG_COMP_CNT: 0
; COMPUTE_PGM_RSRC3_GFX90A:ACCUM_OFFSET: 2
; COMPUTE_PGM_RSRC3_GFX90A:TG_SPLIT: 0
	.section	.text._Z33head_segmented_warp_reduce_kernelI12hip_bfloat16hLj32ELj4EENSt9enable_ifIXsr10test_utilsE35device_test_enabled_for_warp_size_vIXT2_EEEvE4typeEPT_PT0_S5_,"axG",@progbits,_Z33head_segmented_warp_reduce_kernelI12hip_bfloat16hLj32ELj4EENSt9enable_ifIXsr10test_utilsE35device_test_enabled_for_warp_size_vIXT2_EEEvE4typeEPT_PT0_S5_,comdat
	.protected	_Z33head_segmented_warp_reduce_kernelI12hip_bfloat16hLj32ELj4EENSt9enable_ifIXsr10test_utilsE35device_test_enabled_for_warp_size_vIXT2_EEEvE4typeEPT_PT0_S5_ ; -- Begin function _Z33head_segmented_warp_reduce_kernelI12hip_bfloat16hLj32ELj4EENSt9enable_ifIXsr10test_utilsE35device_test_enabled_for_warp_size_vIXT2_EEEvE4typeEPT_PT0_S5_
	.globl	_Z33head_segmented_warp_reduce_kernelI12hip_bfloat16hLj32ELj4EENSt9enable_ifIXsr10test_utilsE35device_test_enabled_for_warp_size_vIXT2_EEEvE4typeEPT_PT0_S5_
	.p2align	8
	.type	_Z33head_segmented_warp_reduce_kernelI12hip_bfloat16hLj32ELj4EENSt9enable_ifIXsr10test_utilsE35device_test_enabled_for_warp_size_vIXT2_EEEvE4typeEPT_PT0_S5_,@function
_Z33head_segmented_warp_reduce_kernelI12hip_bfloat16hLj32ELj4EENSt9enable_ifIXsr10test_utilsE35device_test_enabled_for_warp_size_vIXT2_EEEvE4typeEPT_PT0_S5_: ; @_Z33head_segmented_warp_reduce_kernelI12hip_bfloat16hLj32ELj4EENSt9enable_ifIXsr10test_utilsE35device_test_enabled_for_warp_size_vIXT2_EEEvE4typeEPT_PT0_S5_
; %bb.0:
	s_load_dword s2, s[4:5], 0x24
	s_load_dwordx4 s[8:11], s[4:5], 0x0
	s_load_dwordx2 s[0:1], s[4:5], 0x10
	v_mov_b32_e32 v3, 0
	s_waitcnt lgkmcnt(0)
	s_and_b32 s2, s2, 0xffff
	s_mul_i32 s6, s6, s2
	v_add_u32_e32 v2, s6, v0
	v_lshlrev_b64 v[0:1], 1, v[2:3]
	v_mov_b32_e32 v3, s9
	global_load_ubyte v8, v2, s[10:11]
	v_add_co_u32_e32 v2, vcc, s8, v0
	v_addc_co_u32_e32 v3, vcc, v3, v1, vcc
	global_load_ushort v2, v[2:3], off
	v_mbcnt_lo_u32_b32 v3, -1, 0
	v_mbcnt_hi_u32_b32 v4, -1, v3
	v_and_b32_e32 v5, 3, v4
	v_cmp_ne_u32_e32 vcc, 3, v5
	v_addc_co_u32_e32 v3, vcc, 0, v4, vcc
	v_lshlrev_b64 v[6:7], v4, -1
	v_and_b32_e32 v9, 0x7c, v4
	v_lshlrev_b32_e32 v10, 2, v3
	s_waitcnt vmcnt(1)
	v_cmp_ne_u16_e32 vcc, 0, v8
	s_lshr_b64 s[2:3], vcc, 1
	v_and_b32_e32 v7, s3, v7
	v_and_b32_e32 v6, s2, v6
	v_lshrrev_b64 v[8:9], v9, v[6:7]
	s_waitcnt vmcnt(0)
	v_and_b32_e32 v3, 0xffff, v2
	ds_bpermute_b32 v7, v10, v3
	v_or_b32_e32 v6, 8, v8
	v_ffbl_b32_e32 v8, v9
	v_add_u32_e32 v8, 32, v8
	v_ffbl_b32_e32 v6, v6
	v_min_u32_e32 v6, v6, v8
	v_cmp_lt_u32_e32 vcc, v5, v6
	s_and_saveexec_b64 s[2:3], vcc
	s_cbranch_execz .LBB153_6
; %bb.1:
	s_waitcnt lgkmcnt(0)
	v_lshlrev_b32_e32 v2, 16, v7
	v_lshlrev_b32_e32 v8, 16, v3
	v_pk_add_f32 v[2:3], v[2:3], v[8:9] op_sel_hi:[0,1]
	s_mov_b32 s4, 0x7f800000
	v_and_b32_e32 v3, 0x7f800000, v2
	v_cmp_ne_u32_e32 vcc, s4, v3
                                        ; implicit-def: $vgpr7
	s_and_saveexec_b64 s[4:5], vcc
	s_xor_b64 s[4:5], exec, s[4:5]
; %bb.2:
	v_bfe_u32 v3, v2, 16, 1
	s_movk_i32 s6, 0x7fff
	v_add3_u32 v7, v2, v3, s6
                                        ; implicit-def: $vgpr2_vgpr3
; %bb.3:
	s_andn2_saveexec_b64 s[4:5], s[4:5]
; %bb.4:
	v_mov_b32_e32 v3, 0
	v_or_b32_e32 v7, 0x10000, v2
	v_cmp_eq_u32_sdwa vcc, v2, v3 src0_sel:WORD_0 src1_sel:DWORD
	v_cndmask_b32_e32 v7, v7, v2, vcc
; %bb.5:
	s_or_b64 exec, exec, s[4:5]
	v_lshrrev_b32_e32 v3, 16, v7
	v_mov_b32_e32 v2, v3
.LBB153_6:
	s_or_b64 exec, exec, s[2:3]
	v_cmp_gt_u32_e32 vcc, 2, v5
	s_waitcnt lgkmcnt(0)
	v_cndmask_b32_e64 v7, 0, 1, vcc
	v_lshlrev_b32_e32 v7, 1, v7
	v_add_lshl_u32 v4, v7, v4, 2
	ds_bpermute_b32 v4, v4, v3
	v_add_u32_e32 v5, 2, v5
	v_cmp_le_u32_e32 vcc, v5, v6
	s_and_saveexec_b64 s[2:3], vcc
	s_cbranch_execz .LBB153_12
; %bb.7:
	s_waitcnt lgkmcnt(0)
	v_lshlrev_b32_e32 v2, 16, v4
	v_lshlrev_b32_e32 v4, 16, v3
	v_pk_add_f32 v[2:3], v[2:3], v[4:5] op_sel_hi:[0,1]
	s_mov_b32 s4, 0x7f800000
	v_and_b32_e32 v3, 0x7f800000, v2
	v_cmp_ne_u32_e32 vcc, s4, v3
                                        ; implicit-def: $vgpr4
	s_and_saveexec_b64 s[4:5], vcc
	s_xor_b64 s[4:5], exec, s[4:5]
; %bb.8:
	v_bfe_u32 v3, v2, 16, 1
	s_movk_i32 s6, 0x7fff
	v_add3_u32 v4, v2, v3, s6
                                        ; implicit-def: $vgpr2_vgpr3
; %bb.9:
	s_andn2_saveexec_b64 s[4:5], s[4:5]
; %bb.10:
	v_mov_b32_e32 v3, 0
	v_or_b32_e32 v4, 0x10000, v2
	v_cmp_eq_u32_sdwa vcc, v2, v3 src0_sel:WORD_0 src1_sel:DWORD
	v_cndmask_b32_e32 v4, v4, v2, vcc
; %bb.11:
	s_or_b64 exec, exec, s[4:5]
	v_lshrrev_b32_e32 v2, 16, v4
.LBB153_12:
	s_or_b64 exec, exec, s[2:3]
	v_mov_b32_e32 v3, s1
	v_add_co_u32_e32 v0, vcc, s0, v0
	v_addc_co_u32_e32 v1, vcc, v3, v1, vcc
	global_store_short v[0:1], v2, off
	s_endpgm
	.section	.rodata,"a",@progbits
	.p2align	6, 0x0
	.amdhsa_kernel _Z33head_segmented_warp_reduce_kernelI12hip_bfloat16hLj32ELj4EENSt9enable_ifIXsr10test_utilsE35device_test_enabled_for_warp_size_vIXT2_EEEvE4typeEPT_PT0_S5_
		.amdhsa_group_segment_fixed_size 0
		.amdhsa_private_segment_fixed_size 0
		.amdhsa_kernarg_size 280
		.amdhsa_user_sgpr_count 6
		.amdhsa_user_sgpr_private_segment_buffer 1
		.amdhsa_user_sgpr_dispatch_ptr 0
		.amdhsa_user_sgpr_queue_ptr 0
		.amdhsa_user_sgpr_kernarg_segment_ptr 1
		.amdhsa_user_sgpr_dispatch_id 0
		.amdhsa_user_sgpr_flat_scratch_init 0
		.amdhsa_user_sgpr_kernarg_preload_length 0
		.amdhsa_user_sgpr_kernarg_preload_offset 0
		.amdhsa_user_sgpr_private_segment_size 0
		.amdhsa_uses_dynamic_stack 0
		.amdhsa_system_sgpr_private_segment_wavefront_offset 0
		.amdhsa_system_sgpr_workgroup_id_x 1
		.amdhsa_system_sgpr_workgroup_id_y 0
		.amdhsa_system_sgpr_workgroup_id_z 0
		.amdhsa_system_sgpr_workgroup_info 0
		.amdhsa_system_vgpr_workitem_id 0
		.amdhsa_next_free_vgpr 11
		.amdhsa_next_free_sgpr 12
		.amdhsa_accum_offset 12
		.amdhsa_reserve_vcc 1
		.amdhsa_reserve_flat_scratch 0
		.amdhsa_float_round_mode_32 0
		.amdhsa_float_round_mode_16_64 0
		.amdhsa_float_denorm_mode_32 3
		.amdhsa_float_denorm_mode_16_64 3
		.amdhsa_dx10_clamp 1
		.amdhsa_ieee_mode 1
		.amdhsa_fp16_overflow 0
		.amdhsa_tg_split 0
		.amdhsa_exception_fp_ieee_invalid_op 0
		.amdhsa_exception_fp_denorm_src 0
		.amdhsa_exception_fp_ieee_div_zero 0
		.amdhsa_exception_fp_ieee_overflow 0
		.amdhsa_exception_fp_ieee_underflow 0
		.amdhsa_exception_fp_ieee_inexact 0
		.amdhsa_exception_int_div_zero 0
	.end_amdhsa_kernel
	.section	.text._Z33head_segmented_warp_reduce_kernelI12hip_bfloat16hLj32ELj4EENSt9enable_ifIXsr10test_utilsE35device_test_enabled_for_warp_size_vIXT2_EEEvE4typeEPT_PT0_S5_,"axG",@progbits,_Z33head_segmented_warp_reduce_kernelI12hip_bfloat16hLj32ELj4EENSt9enable_ifIXsr10test_utilsE35device_test_enabled_for_warp_size_vIXT2_EEEvE4typeEPT_PT0_S5_,comdat
.Lfunc_end153:
	.size	_Z33head_segmented_warp_reduce_kernelI12hip_bfloat16hLj32ELj4EENSt9enable_ifIXsr10test_utilsE35device_test_enabled_for_warp_size_vIXT2_EEEvE4typeEPT_PT0_S5_, .Lfunc_end153-_Z33head_segmented_warp_reduce_kernelI12hip_bfloat16hLj32ELj4EENSt9enable_ifIXsr10test_utilsE35device_test_enabled_for_warp_size_vIXT2_EEEvE4typeEPT_PT0_S5_
                                        ; -- End function
	.section	.AMDGPU.csdata,"",@progbits
; Kernel info:
; codeLenInByte = 508
; NumSgprs: 16
; NumVgprs: 11
; NumAgprs: 0
; TotalNumVgprs: 11
; ScratchSize: 0
; MemoryBound: 0
; FloatMode: 240
; IeeeMode: 1
; LDSByteSize: 0 bytes/workgroup (compile time only)
; SGPRBlocks: 1
; VGPRBlocks: 1
; NumSGPRsForWavesPerEU: 16
; NumVGPRsForWavesPerEU: 11
; AccumOffset: 12
; Occupancy: 8
; WaveLimiterHint : 0
; COMPUTE_PGM_RSRC2:SCRATCH_EN: 0
; COMPUTE_PGM_RSRC2:USER_SGPR: 6
; COMPUTE_PGM_RSRC2:TRAP_HANDLER: 0
; COMPUTE_PGM_RSRC2:TGID_X_EN: 1
; COMPUTE_PGM_RSRC2:TGID_Y_EN: 0
; COMPUTE_PGM_RSRC2:TGID_Z_EN: 0
; COMPUTE_PGM_RSRC2:TIDIG_COMP_CNT: 0
; COMPUTE_PGM_RSRC3_GFX90A:ACCUM_OFFSET: 2
; COMPUTE_PGM_RSRC3_GFX90A:TG_SPLIT: 0
	.section	.text._Z33head_segmented_warp_reduce_kernelI12hip_bfloat16hLj64ELj4EENSt9enable_ifIXsr10test_utilsE35device_test_enabled_for_warp_size_vIXT2_EEEvE4typeEPT_PT0_S5_,"axG",@progbits,_Z33head_segmented_warp_reduce_kernelI12hip_bfloat16hLj64ELj4EENSt9enable_ifIXsr10test_utilsE35device_test_enabled_for_warp_size_vIXT2_EEEvE4typeEPT_PT0_S5_,comdat
	.protected	_Z33head_segmented_warp_reduce_kernelI12hip_bfloat16hLj64ELj4EENSt9enable_ifIXsr10test_utilsE35device_test_enabled_for_warp_size_vIXT2_EEEvE4typeEPT_PT0_S5_ ; -- Begin function _Z33head_segmented_warp_reduce_kernelI12hip_bfloat16hLj64ELj4EENSt9enable_ifIXsr10test_utilsE35device_test_enabled_for_warp_size_vIXT2_EEEvE4typeEPT_PT0_S5_
	.globl	_Z33head_segmented_warp_reduce_kernelI12hip_bfloat16hLj64ELj4EENSt9enable_ifIXsr10test_utilsE35device_test_enabled_for_warp_size_vIXT2_EEEvE4typeEPT_PT0_S5_
	.p2align	8
	.type	_Z33head_segmented_warp_reduce_kernelI12hip_bfloat16hLj64ELj4EENSt9enable_ifIXsr10test_utilsE35device_test_enabled_for_warp_size_vIXT2_EEEvE4typeEPT_PT0_S5_,@function
_Z33head_segmented_warp_reduce_kernelI12hip_bfloat16hLj64ELj4EENSt9enable_ifIXsr10test_utilsE35device_test_enabled_for_warp_size_vIXT2_EEEvE4typeEPT_PT0_S5_: ; @_Z33head_segmented_warp_reduce_kernelI12hip_bfloat16hLj64ELj4EENSt9enable_ifIXsr10test_utilsE35device_test_enabled_for_warp_size_vIXT2_EEEvE4typeEPT_PT0_S5_
; %bb.0:
	s_load_dword s2, s[4:5], 0x24
	s_load_dwordx4 s[8:11], s[4:5], 0x0
	s_load_dwordx2 s[0:1], s[4:5], 0x10
	v_mov_b32_e32 v3, 0
	s_waitcnt lgkmcnt(0)
	s_and_b32 s2, s2, 0xffff
	s_mul_i32 s6, s6, s2
	v_add_u32_e32 v2, s6, v0
	v_lshlrev_b64 v[0:1], 1, v[2:3]
	v_mov_b32_e32 v3, s9
	global_load_ubyte v8, v2, s[10:11]
	v_add_co_u32_e32 v2, vcc, s8, v0
	v_addc_co_u32_e32 v3, vcc, v3, v1, vcc
	global_load_ushort v2, v[2:3], off
	v_mbcnt_lo_u32_b32 v3, -1, 0
	v_mbcnt_hi_u32_b32 v4, -1, v3
	v_and_b32_e32 v5, 3, v4
	v_cmp_ne_u32_e32 vcc, 3, v5
	v_addc_co_u32_e32 v3, vcc, 0, v4, vcc
	v_lshlrev_b64 v[6:7], v4, -1
	v_and_b32_e32 v9, 0x7c, v4
	v_lshlrev_b32_e32 v10, 2, v3
	s_waitcnt vmcnt(1)
	v_cmp_ne_u16_e32 vcc, 0, v8
	s_lshr_b64 s[2:3], vcc, 1
	v_and_b32_e32 v7, s3, v7
	v_and_b32_e32 v6, s2, v6
	v_lshrrev_b64 v[8:9], v9, v[6:7]
	s_waitcnt vmcnt(0)
	v_and_b32_e32 v3, 0xffff, v2
	ds_bpermute_b32 v7, v10, v3
	v_or_b32_e32 v6, 8, v8
	v_ffbl_b32_e32 v8, v9
	v_add_u32_e32 v8, 32, v8
	v_ffbl_b32_e32 v6, v6
	v_min_u32_e32 v6, v6, v8
	v_cmp_lt_u32_e32 vcc, v5, v6
	s_and_saveexec_b64 s[2:3], vcc
	s_cbranch_execz .LBB154_6
; %bb.1:
	s_waitcnt lgkmcnt(0)
	v_lshlrev_b32_e32 v2, 16, v7
	v_lshlrev_b32_e32 v8, 16, v3
	v_pk_add_f32 v[2:3], v[2:3], v[8:9] op_sel_hi:[0,1]
	s_mov_b32 s4, 0x7f800000
	v_and_b32_e32 v3, 0x7f800000, v2
	v_cmp_ne_u32_e32 vcc, s4, v3
                                        ; implicit-def: $vgpr7
	s_and_saveexec_b64 s[4:5], vcc
	s_xor_b64 s[4:5], exec, s[4:5]
; %bb.2:
	v_bfe_u32 v3, v2, 16, 1
	s_movk_i32 s6, 0x7fff
	v_add3_u32 v7, v2, v3, s6
                                        ; implicit-def: $vgpr2_vgpr3
; %bb.3:
	s_andn2_saveexec_b64 s[4:5], s[4:5]
; %bb.4:
	v_mov_b32_e32 v3, 0
	v_or_b32_e32 v7, 0x10000, v2
	v_cmp_eq_u32_sdwa vcc, v2, v3 src0_sel:WORD_0 src1_sel:DWORD
	v_cndmask_b32_e32 v7, v7, v2, vcc
; %bb.5:
	s_or_b64 exec, exec, s[4:5]
	v_lshrrev_b32_e32 v3, 16, v7
	v_mov_b32_e32 v2, v3
.LBB154_6:
	s_or_b64 exec, exec, s[2:3]
	v_cmp_gt_u32_e32 vcc, 2, v5
	s_waitcnt lgkmcnt(0)
	v_cndmask_b32_e64 v7, 0, 1, vcc
	v_lshlrev_b32_e32 v7, 1, v7
	v_add_lshl_u32 v4, v7, v4, 2
	ds_bpermute_b32 v4, v4, v3
	v_add_u32_e32 v5, 2, v5
	v_cmp_le_u32_e32 vcc, v5, v6
	s_and_saveexec_b64 s[2:3], vcc
	s_cbranch_execz .LBB154_12
; %bb.7:
	s_waitcnt lgkmcnt(0)
	v_lshlrev_b32_e32 v2, 16, v4
	v_lshlrev_b32_e32 v4, 16, v3
	v_pk_add_f32 v[2:3], v[2:3], v[4:5] op_sel_hi:[0,1]
	s_mov_b32 s4, 0x7f800000
	v_and_b32_e32 v3, 0x7f800000, v2
	v_cmp_ne_u32_e32 vcc, s4, v3
                                        ; implicit-def: $vgpr4
	s_and_saveexec_b64 s[4:5], vcc
	s_xor_b64 s[4:5], exec, s[4:5]
; %bb.8:
	v_bfe_u32 v3, v2, 16, 1
	s_movk_i32 s6, 0x7fff
	v_add3_u32 v4, v2, v3, s6
                                        ; implicit-def: $vgpr2_vgpr3
; %bb.9:
	s_andn2_saveexec_b64 s[4:5], s[4:5]
; %bb.10:
	v_mov_b32_e32 v3, 0
	v_or_b32_e32 v4, 0x10000, v2
	v_cmp_eq_u32_sdwa vcc, v2, v3 src0_sel:WORD_0 src1_sel:DWORD
	v_cndmask_b32_e32 v4, v4, v2, vcc
; %bb.11:
	s_or_b64 exec, exec, s[4:5]
	v_lshrrev_b32_e32 v2, 16, v4
.LBB154_12:
	s_or_b64 exec, exec, s[2:3]
	v_mov_b32_e32 v3, s1
	v_add_co_u32_e32 v0, vcc, s0, v0
	v_addc_co_u32_e32 v1, vcc, v3, v1, vcc
	global_store_short v[0:1], v2, off
	s_endpgm
	.section	.rodata,"a",@progbits
	.p2align	6, 0x0
	.amdhsa_kernel _Z33head_segmented_warp_reduce_kernelI12hip_bfloat16hLj64ELj4EENSt9enable_ifIXsr10test_utilsE35device_test_enabled_for_warp_size_vIXT2_EEEvE4typeEPT_PT0_S5_
		.amdhsa_group_segment_fixed_size 0
		.amdhsa_private_segment_fixed_size 0
		.amdhsa_kernarg_size 280
		.amdhsa_user_sgpr_count 6
		.amdhsa_user_sgpr_private_segment_buffer 1
		.amdhsa_user_sgpr_dispatch_ptr 0
		.amdhsa_user_sgpr_queue_ptr 0
		.amdhsa_user_sgpr_kernarg_segment_ptr 1
		.amdhsa_user_sgpr_dispatch_id 0
		.amdhsa_user_sgpr_flat_scratch_init 0
		.amdhsa_user_sgpr_kernarg_preload_length 0
		.amdhsa_user_sgpr_kernarg_preload_offset 0
		.amdhsa_user_sgpr_private_segment_size 0
		.amdhsa_uses_dynamic_stack 0
		.amdhsa_system_sgpr_private_segment_wavefront_offset 0
		.amdhsa_system_sgpr_workgroup_id_x 1
		.amdhsa_system_sgpr_workgroup_id_y 0
		.amdhsa_system_sgpr_workgroup_id_z 0
		.amdhsa_system_sgpr_workgroup_info 0
		.amdhsa_system_vgpr_workitem_id 0
		.amdhsa_next_free_vgpr 11
		.amdhsa_next_free_sgpr 12
		.amdhsa_accum_offset 12
		.amdhsa_reserve_vcc 1
		.amdhsa_reserve_flat_scratch 0
		.amdhsa_float_round_mode_32 0
		.amdhsa_float_round_mode_16_64 0
		.amdhsa_float_denorm_mode_32 3
		.amdhsa_float_denorm_mode_16_64 3
		.amdhsa_dx10_clamp 1
		.amdhsa_ieee_mode 1
		.amdhsa_fp16_overflow 0
		.amdhsa_tg_split 0
		.amdhsa_exception_fp_ieee_invalid_op 0
		.amdhsa_exception_fp_denorm_src 0
		.amdhsa_exception_fp_ieee_div_zero 0
		.amdhsa_exception_fp_ieee_overflow 0
		.amdhsa_exception_fp_ieee_underflow 0
		.amdhsa_exception_fp_ieee_inexact 0
		.amdhsa_exception_int_div_zero 0
	.end_amdhsa_kernel
	.section	.text._Z33head_segmented_warp_reduce_kernelI12hip_bfloat16hLj64ELj4EENSt9enable_ifIXsr10test_utilsE35device_test_enabled_for_warp_size_vIXT2_EEEvE4typeEPT_PT0_S5_,"axG",@progbits,_Z33head_segmented_warp_reduce_kernelI12hip_bfloat16hLj64ELj4EENSt9enable_ifIXsr10test_utilsE35device_test_enabled_for_warp_size_vIXT2_EEEvE4typeEPT_PT0_S5_,comdat
.Lfunc_end154:
	.size	_Z33head_segmented_warp_reduce_kernelI12hip_bfloat16hLj64ELj4EENSt9enable_ifIXsr10test_utilsE35device_test_enabled_for_warp_size_vIXT2_EEEvE4typeEPT_PT0_S5_, .Lfunc_end154-_Z33head_segmented_warp_reduce_kernelI12hip_bfloat16hLj64ELj4EENSt9enable_ifIXsr10test_utilsE35device_test_enabled_for_warp_size_vIXT2_EEEvE4typeEPT_PT0_S5_
                                        ; -- End function
	.section	.AMDGPU.csdata,"",@progbits
; Kernel info:
; codeLenInByte = 508
; NumSgprs: 16
; NumVgprs: 11
; NumAgprs: 0
; TotalNumVgprs: 11
; ScratchSize: 0
; MemoryBound: 0
; FloatMode: 240
; IeeeMode: 1
; LDSByteSize: 0 bytes/workgroup (compile time only)
; SGPRBlocks: 1
; VGPRBlocks: 1
; NumSGPRsForWavesPerEU: 16
; NumVGPRsForWavesPerEU: 11
; AccumOffset: 12
; Occupancy: 8
; WaveLimiterHint : 0
; COMPUTE_PGM_RSRC2:SCRATCH_EN: 0
; COMPUTE_PGM_RSRC2:USER_SGPR: 6
; COMPUTE_PGM_RSRC2:TRAP_HANDLER: 0
; COMPUTE_PGM_RSRC2:TGID_X_EN: 1
; COMPUTE_PGM_RSRC2:TGID_Y_EN: 0
; COMPUTE_PGM_RSRC2:TGID_Z_EN: 0
; COMPUTE_PGM_RSRC2:TIDIG_COMP_CNT: 0
; COMPUTE_PGM_RSRC3_GFX90A:ACCUM_OFFSET: 2
; COMPUTE_PGM_RSRC3_GFX90A:TG_SPLIT: 0
	.section	.text._Z33head_segmented_warp_reduce_kernelI12hip_bfloat16hLj32ELj2EENSt9enable_ifIXsr10test_utilsE35device_test_enabled_for_warp_size_vIXT2_EEEvE4typeEPT_PT0_S5_,"axG",@progbits,_Z33head_segmented_warp_reduce_kernelI12hip_bfloat16hLj32ELj2EENSt9enable_ifIXsr10test_utilsE35device_test_enabled_for_warp_size_vIXT2_EEEvE4typeEPT_PT0_S5_,comdat
	.protected	_Z33head_segmented_warp_reduce_kernelI12hip_bfloat16hLj32ELj2EENSt9enable_ifIXsr10test_utilsE35device_test_enabled_for_warp_size_vIXT2_EEEvE4typeEPT_PT0_S5_ ; -- Begin function _Z33head_segmented_warp_reduce_kernelI12hip_bfloat16hLj32ELj2EENSt9enable_ifIXsr10test_utilsE35device_test_enabled_for_warp_size_vIXT2_EEEvE4typeEPT_PT0_S5_
	.globl	_Z33head_segmented_warp_reduce_kernelI12hip_bfloat16hLj32ELj2EENSt9enable_ifIXsr10test_utilsE35device_test_enabled_for_warp_size_vIXT2_EEEvE4typeEPT_PT0_S5_
	.p2align	8
	.type	_Z33head_segmented_warp_reduce_kernelI12hip_bfloat16hLj32ELj2EENSt9enable_ifIXsr10test_utilsE35device_test_enabled_for_warp_size_vIXT2_EEEvE4typeEPT_PT0_S5_,@function
_Z33head_segmented_warp_reduce_kernelI12hip_bfloat16hLj32ELj2EENSt9enable_ifIXsr10test_utilsE35device_test_enabled_for_warp_size_vIXT2_EEEvE4typeEPT_PT0_S5_: ; @_Z33head_segmented_warp_reduce_kernelI12hip_bfloat16hLj32ELj2EENSt9enable_ifIXsr10test_utilsE35device_test_enabled_for_warp_size_vIXT2_EEEvE4typeEPT_PT0_S5_
; %bb.0:
	s_load_dword s2, s[4:5], 0x24
	s_load_dwordx4 s[8:11], s[4:5], 0x0
	s_load_dwordx2 s[0:1], s[4:5], 0x10
	v_mov_b32_e32 v3, 0
	s_waitcnt lgkmcnt(0)
	s_and_b32 s2, s2, 0xffff
	s_mul_i32 s6, s6, s2
	v_add_u32_e32 v2, s6, v0
	v_lshlrev_b64 v[0:1], 1, v[2:3]
	v_mov_b32_e32 v3, s9
	global_load_ubyte v6, v2, s[10:11]
	v_add_co_u32_e32 v2, vcc, s8, v0
	v_addc_co_u32_e32 v3, vcc, v3, v1, vcc
	global_load_ushort v2, v[2:3], off
	v_mbcnt_lo_u32_b32 v3, -1, 0
	v_mbcnt_hi_u32_b32 v8, -1, v3
	v_lshlrev_b64 v[4:5], v8, -1
	v_and_b32_e32 v7, 0x7e, v8
	v_lshl_or_b32 v9, v8, 2, 4
	s_waitcnt vmcnt(1)
	v_cmp_ne_u16_e32 vcc, 0, v6
	s_lshr_b64 s[2:3], vcc, 1
	v_and_b32_e32 v5, s3, v5
	v_and_b32_e32 v4, s2, v4
	v_lshrrev_b64 v[6:7], v7, v[4:5]
	s_waitcnt vmcnt(0)
	v_and_b32_e32 v3, 0xffff, v2
	ds_bpermute_b32 v4, v9, v3
	v_or_b32_e32 v5, 2, v6
	v_ffbl_b32_e32 v6, v7
	v_add_u32_e32 v6, 32, v6
	v_ffbl_b32_e32 v5, v5
	v_min_u32_e32 v5, v5, v6
	v_and_b32_e32 v6, 1, v8
	v_cmp_lt_u32_e32 vcc, v6, v5
	s_and_saveexec_b64 s[2:3], vcc
	s_cbranch_execz .LBB155_6
; %bb.1:
	s_waitcnt lgkmcnt(0)
	v_lshlrev_b32_e32 v2, 16, v4
	v_lshlrev_b32_e32 v4, 16, v3
	v_pk_add_f32 v[2:3], v[2:3], v[4:5] op_sel_hi:[0,1]
	s_mov_b32 s4, 0x7f800000
	v_and_b32_e32 v3, 0x7f800000, v2
	v_cmp_ne_u32_e32 vcc, s4, v3
                                        ; implicit-def: $vgpr4
	s_and_saveexec_b64 s[4:5], vcc
	s_xor_b64 s[4:5], exec, s[4:5]
; %bb.2:
	v_bfe_u32 v3, v2, 16, 1
	s_movk_i32 s6, 0x7fff
	v_add3_u32 v4, v2, v3, s6
                                        ; implicit-def: $vgpr2_vgpr3
; %bb.3:
	s_andn2_saveexec_b64 s[4:5], s[4:5]
; %bb.4:
	v_mov_b32_e32 v3, 0
	v_or_b32_e32 v4, 0x10000, v2
	v_cmp_eq_u32_sdwa vcc, v2, v3 src0_sel:WORD_0 src1_sel:DWORD
	v_cndmask_b32_e32 v4, v4, v2, vcc
; %bb.5:
	s_or_b64 exec, exec, s[4:5]
	v_lshrrev_b32_e32 v2, 16, v4
.LBB155_6:
	s_or_b64 exec, exec, s[2:3]
	v_mov_b32_e32 v3, s1
	v_add_co_u32_e32 v0, vcc, s0, v0
	v_addc_co_u32_e32 v1, vcc, v3, v1, vcc
	global_store_short v[0:1], v2, off
	s_endpgm
	.section	.rodata,"a",@progbits
	.p2align	6, 0x0
	.amdhsa_kernel _Z33head_segmented_warp_reduce_kernelI12hip_bfloat16hLj32ELj2EENSt9enable_ifIXsr10test_utilsE35device_test_enabled_for_warp_size_vIXT2_EEEvE4typeEPT_PT0_S5_
		.amdhsa_group_segment_fixed_size 0
		.amdhsa_private_segment_fixed_size 0
		.amdhsa_kernarg_size 280
		.amdhsa_user_sgpr_count 6
		.amdhsa_user_sgpr_private_segment_buffer 1
		.amdhsa_user_sgpr_dispatch_ptr 0
		.amdhsa_user_sgpr_queue_ptr 0
		.amdhsa_user_sgpr_kernarg_segment_ptr 1
		.amdhsa_user_sgpr_dispatch_id 0
		.amdhsa_user_sgpr_flat_scratch_init 0
		.amdhsa_user_sgpr_kernarg_preload_length 0
		.amdhsa_user_sgpr_kernarg_preload_offset 0
		.amdhsa_user_sgpr_private_segment_size 0
		.amdhsa_uses_dynamic_stack 0
		.amdhsa_system_sgpr_private_segment_wavefront_offset 0
		.amdhsa_system_sgpr_workgroup_id_x 1
		.amdhsa_system_sgpr_workgroup_id_y 0
		.amdhsa_system_sgpr_workgroup_id_z 0
		.amdhsa_system_sgpr_workgroup_info 0
		.amdhsa_system_vgpr_workitem_id 0
		.amdhsa_next_free_vgpr 10
		.amdhsa_next_free_sgpr 12
		.amdhsa_accum_offset 12
		.amdhsa_reserve_vcc 1
		.amdhsa_reserve_flat_scratch 0
		.amdhsa_float_round_mode_32 0
		.amdhsa_float_round_mode_16_64 0
		.amdhsa_float_denorm_mode_32 3
		.amdhsa_float_denorm_mode_16_64 3
		.amdhsa_dx10_clamp 1
		.amdhsa_ieee_mode 1
		.amdhsa_fp16_overflow 0
		.amdhsa_tg_split 0
		.amdhsa_exception_fp_ieee_invalid_op 0
		.amdhsa_exception_fp_denorm_src 0
		.amdhsa_exception_fp_ieee_div_zero 0
		.amdhsa_exception_fp_ieee_overflow 0
		.amdhsa_exception_fp_ieee_underflow 0
		.amdhsa_exception_fp_ieee_inexact 0
		.amdhsa_exception_int_div_zero 0
	.end_amdhsa_kernel
	.section	.text._Z33head_segmented_warp_reduce_kernelI12hip_bfloat16hLj32ELj2EENSt9enable_ifIXsr10test_utilsE35device_test_enabled_for_warp_size_vIXT2_EEEvE4typeEPT_PT0_S5_,"axG",@progbits,_Z33head_segmented_warp_reduce_kernelI12hip_bfloat16hLj32ELj2EENSt9enable_ifIXsr10test_utilsE35device_test_enabled_for_warp_size_vIXT2_EEEvE4typeEPT_PT0_S5_,comdat
.Lfunc_end155:
	.size	_Z33head_segmented_warp_reduce_kernelI12hip_bfloat16hLj32ELj2EENSt9enable_ifIXsr10test_utilsE35device_test_enabled_for_warp_size_vIXT2_EEEvE4typeEPT_PT0_S5_, .Lfunc_end155-_Z33head_segmented_warp_reduce_kernelI12hip_bfloat16hLj32ELj2EENSt9enable_ifIXsr10test_utilsE35device_test_enabled_for_warp_size_vIXT2_EEEvE4typeEPT_PT0_S5_
                                        ; -- End function
	.section	.AMDGPU.csdata,"",@progbits
; Kernel info:
; codeLenInByte = 340
; NumSgprs: 16
; NumVgprs: 10
; NumAgprs: 0
; TotalNumVgprs: 10
; ScratchSize: 0
; MemoryBound: 0
; FloatMode: 240
; IeeeMode: 1
; LDSByteSize: 0 bytes/workgroup (compile time only)
; SGPRBlocks: 1
; VGPRBlocks: 1
; NumSGPRsForWavesPerEU: 16
; NumVGPRsForWavesPerEU: 10
; AccumOffset: 12
; Occupancy: 8
; WaveLimiterHint : 0
; COMPUTE_PGM_RSRC2:SCRATCH_EN: 0
; COMPUTE_PGM_RSRC2:USER_SGPR: 6
; COMPUTE_PGM_RSRC2:TRAP_HANDLER: 0
; COMPUTE_PGM_RSRC2:TGID_X_EN: 1
; COMPUTE_PGM_RSRC2:TGID_Y_EN: 0
; COMPUTE_PGM_RSRC2:TGID_Z_EN: 0
; COMPUTE_PGM_RSRC2:TIDIG_COMP_CNT: 0
; COMPUTE_PGM_RSRC3_GFX90A:ACCUM_OFFSET: 2
; COMPUTE_PGM_RSRC3_GFX90A:TG_SPLIT: 0
	.section	.text._Z33head_segmented_warp_reduce_kernelI12hip_bfloat16hLj64ELj2EENSt9enable_ifIXsr10test_utilsE35device_test_enabled_for_warp_size_vIXT2_EEEvE4typeEPT_PT0_S5_,"axG",@progbits,_Z33head_segmented_warp_reduce_kernelI12hip_bfloat16hLj64ELj2EENSt9enable_ifIXsr10test_utilsE35device_test_enabled_for_warp_size_vIXT2_EEEvE4typeEPT_PT0_S5_,comdat
	.protected	_Z33head_segmented_warp_reduce_kernelI12hip_bfloat16hLj64ELj2EENSt9enable_ifIXsr10test_utilsE35device_test_enabled_for_warp_size_vIXT2_EEEvE4typeEPT_PT0_S5_ ; -- Begin function _Z33head_segmented_warp_reduce_kernelI12hip_bfloat16hLj64ELj2EENSt9enable_ifIXsr10test_utilsE35device_test_enabled_for_warp_size_vIXT2_EEEvE4typeEPT_PT0_S5_
	.globl	_Z33head_segmented_warp_reduce_kernelI12hip_bfloat16hLj64ELj2EENSt9enable_ifIXsr10test_utilsE35device_test_enabled_for_warp_size_vIXT2_EEEvE4typeEPT_PT0_S5_
	.p2align	8
	.type	_Z33head_segmented_warp_reduce_kernelI12hip_bfloat16hLj64ELj2EENSt9enable_ifIXsr10test_utilsE35device_test_enabled_for_warp_size_vIXT2_EEEvE4typeEPT_PT0_S5_,@function
_Z33head_segmented_warp_reduce_kernelI12hip_bfloat16hLj64ELj2EENSt9enable_ifIXsr10test_utilsE35device_test_enabled_for_warp_size_vIXT2_EEEvE4typeEPT_PT0_S5_: ; @_Z33head_segmented_warp_reduce_kernelI12hip_bfloat16hLj64ELj2EENSt9enable_ifIXsr10test_utilsE35device_test_enabled_for_warp_size_vIXT2_EEEvE4typeEPT_PT0_S5_
; %bb.0:
	s_load_dword s2, s[4:5], 0x24
	s_load_dwordx4 s[8:11], s[4:5], 0x0
	s_load_dwordx2 s[0:1], s[4:5], 0x10
	v_mov_b32_e32 v3, 0
	s_waitcnt lgkmcnt(0)
	s_and_b32 s2, s2, 0xffff
	s_mul_i32 s6, s6, s2
	v_add_u32_e32 v2, s6, v0
	v_lshlrev_b64 v[0:1], 1, v[2:3]
	v_mov_b32_e32 v3, s9
	global_load_ubyte v6, v2, s[10:11]
	v_add_co_u32_e32 v2, vcc, s8, v0
	v_addc_co_u32_e32 v3, vcc, v3, v1, vcc
	global_load_ushort v2, v[2:3], off
	v_mbcnt_lo_u32_b32 v3, -1, 0
	v_mbcnt_hi_u32_b32 v8, -1, v3
	v_lshlrev_b64 v[4:5], v8, -1
	v_and_b32_e32 v7, 0x7e, v8
	v_lshl_or_b32 v9, v8, 2, 4
	s_waitcnt vmcnt(1)
	v_cmp_ne_u16_e32 vcc, 0, v6
	s_lshr_b64 s[2:3], vcc, 1
	v_and_b32_e32 v5, s3, v5
	v_and_b32_e32 v4, s2, v4
	v_lshrrev_b64 v[6:7], v7, v[4:5]
	s_waitcnt vmcnt(0)
	v_and_b32_e32 v3, 0xffff, v2
	ds_bpermute_b32 v4, v9, v3
	v_or_b32_e32 v5, 2, v6
	v_ffbl_b32_e32 v6, v7
	v_add_u32_e32 v6, 32, v6
	v_ffbl_b32_e32 v5, v5
	v_min_u32_e32 v5, v5, v6
	v_and_b32_e32 v6, 1, v8
	v_cmp_lt_u32_e32 vcc, v6, v5
	s_and_saveexec_b64 s[2:3], vcc
	s_cbranch_execz .LBB156_6
; %bb.1:
	s_waitcnt lgkmcnt(0)
	v_lshlrev_b32_e32 v2, 16, v4
	v_lshlrev_b32_e32 v4, 16, v3
	v_pk_add_f32 v[2:3], v[2:3], v[4:5] op_sel_hi:[0,1]
	s_mov_b32 s4, 0x7f800000
	v_and_b32_e32 v3, 0x7f800000, v2
	v_cmp_ne_u32_e32 vcc, s4, v3
                                        ; implicit-def: $vgpr4
	s_and_saveexec_b64 s[4:5], vcc
	s_xor_b64 s[4:5], exec, s[4:5]
; %bb.2:
	v_bfe_u32 v3, v2, 16, 1
	s_movk_i32 s6, 0x7fff
	v_add3_u32 v4, v2, v3, s6
                                        ; implicit-def: $vgpr2_vgpr3
; %bb.3:
	s_andn2_saveexec_b64 s[4:5], s[4:5]
; %bb.4:
	v_mov_b32_e32 v3, 0
	v_or_b32_e32 v4, 0x10000, v2
	v_cmp_eq_u32_sdwa vcc, v2, v3 src0_sel:WORD_0 src1_sel:DWORD
	v_cndmask_b32_e32 v4, v4, v2, vcc
; %bb.5:
	s_or_b64 exec, exec, s[4:5]
	v_lshrrev_b32_e32 v2, 16, v4
.LBB156_6:
	s_or_b64 exec, exec, s[2:3]
	v_mov_b32_e32 v3, s1
	v_add_co_u32_e32 v0, vcc, s0, v0
	v_addc_co_u32_e32 v1, vcc, v3, v1, vcc
	global_store_short v[0:1], v2, off
	s_endpgm
	.section	.rodata,"a",@progbits
	.p2align	6, 0x0
	.amdhsa_kernel _Z33head_segmented_warp_reduce_kernelI12hip_bfloat16hLj64ELj2EENSt9enable_ifIXsr10test_utilsE35device_test_enabled_for_warp_size_vIXT2_EEEvE4typeEPT_PT0_S5_
		.amdhsa_group_segment_fixed_size 0
		.amdhsa_private_segment_fixed_size 0
		.amdhsa_kernarg_size 280
		.amdhsa_user_sgpr_count 6
		.amdhsa_user_sgpr_private_segment_buffer 1
		.amdhsa_user_sgpr_dispatch_ptr 0
		.amdhsa_user_sgpr_queue_ptr 0
		.amdhsa_user_sgpr_kernarg_segment_ptr 1
		.amdhsa_user_sgpr_dispatch_id 0
		.amdhsa_user_sgpr_flat_scratch_init 0
		.amdhsa_user_sgpr_kernarg_preload_length 0
		.amdhsa_user_sgpr_kernarg_preload_offset 0
		.amdhsa_user_sgpr_private_segment_size 0
		.amdhsa_uses_dynamic_stack 0
		.amdhsa_system_sgpr_private_segment_wavefront_offset 0
		.amdhsa_system_sgpr_workgroup_id_x 1
		.amdhsa_system_sgpr_workgroup_id_y 0
		.amdhsa_system_sgpr_workgroup_id_z 0
		.amdhsa_system_sgpr_workgroup_info 0
		.amdhsa_system_vgpr_workitem_id 0
		.amdhsa_next_free_vgpr 10
		.amdhsa_next_free_sgpr 12
		.amdhsa_accum_offset 12
		.amdhsa_reserve_vcc 1
		.amdhsa_reserve_flat_scratch 0
		.amdhsa_float_round_mode_32 0
		.amdhsa_float_round_mode_16_64 0
		.amdhsa_float_denorm_mode_32 3
		.amdhsa_float_denorm_mode_16_64 3
		.amdhsa_dx10_clamp 1
		.amdhsa_ieee_mode 1
		.amdhsa_fp16_overflow 0
		.amdhsa_tg_split 0
		.amdhsa_exception_fp_ieee_invalid_op 0
		.amdhsa_exception_fp_denorm_src 0
		.amdhsa_exception_fp_ieee_div_zero 0
		.amdhsa_exception_fp_ieee_overflow 0
		.amdhsa_exception_fp_ieee_underflow 0
		.amdhsa_exception_fp_ieee_inexact 0
		.amdhsa_exception_int_div_zero 0
	.end_amdhsa_kernel
	.section	.text._Z33head_segmented_warp_reduce_kernelI12hip_bfloat16hLj64ELj2EENSt9enable_ifIXsr10test_utilsE35device_test_enabled_for_warp_size_vIXT2_EEEvE4typeEPT_PT0_S5_,"axG",@progbits,_Z33head_segmented_warp_reduce_kernelI12hip_bfloat16hLj64ELj2EENSt9enable_ifIXsr10test_utilsE35device_test_enabled_for_warp_size_vIXT2_EEEvE4typeEPT_PT0_S5_,comdat
.Lfunc_end156:
	.size	_Z33head_segmented_warp_reduce_kernelI12hip_bfloat16hLj64ELj2EENSt9enable_ifIXsr10test_utilsE35device_test_enabled_for_warp_size_vIXT2_EEEvE4typeEPT_PT0_S5_, .Lfunc_end156-_Z33head_segmented_warp_reduce_kernelI12hip_bfloat16hLj64ELj2EENSt9enable_ifIXsr10test_utilsE35device_test_enabled_for_warp_size_vIXT2_EEEvE4typeEPT_PT0_S5_
                                        ; -- End function
	.section	.AMDGPU.csdata,"",@progbits
; Kernel info:
; codeLenInByte = 340
; NumSgprs: 16
; NumVgprs: 10
; NumAgprs: 0
; TotalNumVgprs: 10
; ScratchSize: 0
; MemoryBound: 0
; FloatMode: 240
; IeeeMode: 1
; LDSByteSize: 0 bytes/workgroup (compile time only)
; SGPRBlocks: 1
; VGPRBlocks: 1
; NumSGPRsForWavesPerEU: 16
; NumVGPRsForWavesPerEU: 10
; AccumOffset: 12
; Occupancy: 8
; WaveLimiterHint : 0
; COMPUTE_PGM_RSRC2:SCRATCH_EN: 0
; COMPUTE_PGM_RSRC2:USER_SGPR: 6
; COMPUTE_PGM_RSRC2:TRAP_HANDLER: 0
; COMPUTE_PGM_RSRC2:TGID_X_EN: 1
; COMPUTE_PGM_RSRC2:TGID_Y_EN: 0
; COMPUTE_PGM_RSRC2:TGID_Z_EN: 0
; COMPUTE_PGM_RSRC2:TIDIG_COMP_CNT: 0
; COMPUTE_PGM_RSRC3_GFX90A:ACCUM_OFFSET: 2
; COMPUTE_PGM_RSRC3_GFX90A:TG_SPLIT: 0
	.section	.text._Z33head_segmented_warp_reduce_kernelI12hip_bfloat16hLj32ELj1EENSt9enable_ifIXsr10test_utilsE35device_test_enabled_for_warp_size_vIXT2_EEEvE4typeEPT_PT0_S5_,"axG",@progbits,_Z33head_segmented_warp_reduce_kernelI12hip_bfloat16hLj32ELj1EENSt9enable_ifIXsr10test_utilsE35device_test_enabled_for_warp_size_vIXT2_EEEvE4typeEPT_PT0_S5_,comdat
	.protected	_Z33head_segmented_warp_reduce_kernelI12hip_bfloat16hLj32ELj1EENSt9enable_ifIXsr10test_utilsE35device_test_enabled_for_warp_size_vIXT2_EEEvE4typeEPT_PT0_S5_ ; -- Begin function _Z33head_segmented_warp_reduce_kernelI12hip_bfloat16hLj32ELj1EENSt9enable_ifIXsr10test_utilsE35device_test_enabled_for_warp_size_vIXT2_EEEvE4typeEPT_PT0_S5_
	.globl	_Z33head_segmented_warp_reduce_kernelI12hip_bfloat16hLj32ELj1EENSt9enable_ifIXsr10test_utilsE35device_test_enabled_for_warp_size_vIXT2_EEEvE4typeEPT_PT0_S5_
	.p2align	8
	.type	_Z33head_segmented_warp_reduce_kernelI12hip_bfloat16hLj32ELj1EENSt9enable_ifIXsr10test_utilsE35device_test_enabled_for_warp_size_vIXT2_EEEvE4typeEPT_PT0_S5_,@function
_Z33head_segmented_warp_reduce_kernelI12hip_bfloat16hLj32ELj1EENSt9enable_ifIXsr10test_utilsE35device_test_enabled_for_warp_size_vIXT2_EEEvE4typeEPT_PT0_S5_: ; @_Z33head_segmented_warp_reduce_kernelI12hip_bfloat16hLj32ELj1EENSt9enable_ifIXsr10test_utilsE35device_test_enabled_for_warp_size_vIXT2_EEEvE4typeEPT_PT0_S5_
; %bb.0:
	s_load_dword s7, s[4:5], 0x24
	s_load_dwordx2 s[0:1], s[4:5], 0x0
	s_load_dwordx2 s[2:3], s[4:5], 0x10
	v_mov_b32_e32 v1, 0
	s_waitcnt lgkmcnt(0)
	s_and_b32 s4, s7, 0xffff
	s_mul_i32 s6, s6, s4
	v_add_u32_e32 v0, s6, v0
	v_lshlrev_b64 v[0:1], 1, v[0:1]
	v_mov_b32_e32 v3, s1
	v_add_co_u32_e32 v2, vcc, s0, v0
	v_addc_co_u32_e32 v3, vcc, v3, v1, vcc
	global_load_ushort v2, v[2:3], off
	v_mov_b32_e32 v3, s3
	v_add_co_u32_e32 v0, vcc, s2, v0
	v_addc_co_u32_e32 v1, vcc, v3, v1, vcc
	s_waitcnt vmcnt(0)
	global_store_short v[0:1], v2, off
	s_endpgm
	.section	.rodata,"a",@progbits
	.p2align	6, 0x0
	.amdhsa_kernel _Z33head_segmented_warp_reduce_kernelI12hip_bfloat16hLj32ELj1EENSt9enable_ifIXsr10test_utilsE35device_test_enabled_for_warp_size_vIXT2_EEEvE4typeEPT_PT0_S5_
		.amdhsa_group_segment_fixed_size 0
		.amdhsa_private_segment_fixed_size 0
		.amdhsa_kernarg_size 280
		.amdhsa_user_sgpr_count 6
		.amdhsa_user_sgpr_private_segment_buffer 1
		.amdhsa_user_sgpr_dispatch_ptr 0
		.amdhsa_user_sgpr_queue_ptr 0
		.amdhsa_user_sgpr_kernarg_segment_ptr 1
		.amdhsa_user_sgpr_dispatch_id 0
		.amdhsa_user_sgpr_flat_scratch_init 0
		.amdhsa_user_sgpr_kernarg_preload_length 0
		.amdhsa_user_sgpr_kernarg_preload_offset 0
		.amdhsa_user_sgpr_private_segment_size 0
		.amdhsa_uses_dynamic_stack 0
		.amdhsa_system_sgpr_private_segment_wavefront_offset 0
		.amdhsa_system_sgpr_workgroup_id_x 1
		.amdhsa_system_sgpr_workgroup_id_y 0
		.amdhsa_system_sgpr_workgroup_id_z 0
		.amdhsa_system_sgpr_workgroup_info 0
		.amdhsa_system_vgpr_workitem_id 0
		.amdhsa_next_free_vgpr 4
		.amdhsa_next_free_sgpr 8
		.amdhsa_accum_offset 4
		.amdhsa_reserve_vcc 1
		.amdhsa_reserve_flat_scratch 0
		.amdhsa_float_round_mode_32 0
		.amdhsa_float_round_mode_16_64 0
		.amdhsa_float_denorm_mode_32 3
		.amdhsa_float_denorm_mode_16_64 3
		.amdhsa_dx10_clamp 1
		.amdhsa_ieee_mode 1
		.amdhsa_fp16_overflow 0
		.amdhsa_tg_split 0
		.amdhsa_exception_fp_ieee_invalid_op 0
		.amdhsa_exception_fp_denorm_src 0
		.amdhsa_exception_fp_ieee_div_zero 0
		.amdhsa_exception_fp_ieee_overflow 0
		.amdhsa_exception_fp_ieee_underflow 0
		.amdhsa_exception_fp_ieee_inexact 0
		.amdhsa_exception_int_div_zero 0
	.end_amdhsa_kernel
	.section	.text._Z33head_segmented_warp_reduce_kernelI12hip_bfloat16hLj32ELj1EENSt9enable_ifIXsr10test_utilsE35device_test_enabled_for_warp_size_vIXT2_EEEvE4typeEPT_PT0_S5_,"axG",@progbits,_Z33head_segmented_warp_reduce_kernelI12hip_bfloat16hLj32ELj1EENSt9enable_ifIXsr10test_utilsE35device_test_enabled_for_warp_size_vIXT2_EEEvE4typeEPT_PT0_S5_,comdat
.Lfunc_end157:
	.size	_Z33head_segmented_warp_reduce_kernelI12hip_bfloat16hLj32ELj1EENSt9enable_ifIXsr10test_utilsE35device_test_enabled_for_warp_size_vIXT2_EEEvE4typeEPT_PT0_S5_, .Lfunc_end157-_Z33head_segmented_warp_reduce_kernelI12hip_bfloat16hLj32ELj1EENSt9enable_ifIXsr10test_utilsE35device_test_enabled_for_warp_size_vIXT2_EEEvE4typeEPT_PT0_S5_
                                        ; -- End function
	.section	.AMDGPU.csdata,"",@progbits
; Kernel info:
; codeLenInByte = 104
; NumSgprs: 12
; NumVgprs: 4
; NumAgprs: 0
; TotalNumVgprs: 4
; ScratchSize: 0
; MemoryBound: 0
; FloatMode: 240
; IeeeMode: 1
; LDSByteSize: 0 bytes/workgroup (compile time only)
; SGPRBlocks: 1
; VGPRBlocks: 0
; NumSGPRsForWavesPerEU: 12
; NumVGPRsForWavesPerEU: 4
; AccumOffset: 4
; Occupancy: 8
; WaveLimiterHint : 0
; COMPUTE_PGM_RSRC2:SCRATCH_EN: 0
; COMPUTE_PGM_RSRC2:USER_SGPR: 6
; COMPUTE_PGM_RSRC2:TRAP_HANDLER: 0
; COMPUTE_PGM_RSRC2:TGID_X_EN: 1
; COMPUTE_PGM_RSRC2:TGID_Y_EN: 0
; COMPUTE_PGM_RSRC2:TGID_Z_EN: 0
; COMPUTE_PGM_RSRC2:TIDIG_COMP_CNT: 0
; COMPUTE_PGM_RSRC3_GFX90A:ACCUM_OFFSET: 0
; COMPUTE_PGM_RSRC3_GFX90A:TG_SPLIT: 0
	.section	.text._Z33head_segmented_warp_reduce_kernelI12hip_bfloat16hLj64ELj1EENSt9enable_ifIXsr10test_utilsE35device_test_enabled_for_warp_size_vIXT2_EEEvE4typeEPT_PT0_S5_,"axG",@progbits,_Z33head_segmented_warp_reduce_kernelI12hip_bfloat16hLj64ELj1EENSt9enable_ifIXsr10test_utilsE35device_test_enabled_for_warp_size_vIXT2_EEEvE4typeEPT_PT0_S5_,comdat
	.protected	_Z33head_segmented_warp_reduce_kernelI12hip_bfloat16hLj64ELj1EENSt9enable_ifIXsr10test_utilsE35device_test_enabled_for_warp_size_vIXT2_EEEvE4typeEPT_PT0_S5_ ; -- Begin function _Z33head_segmented_warp_reduce_kernelI12hip_bfloat16hLj64ELj1EENSt9enable_ifIXsr10test_utilsE35device_test_enabled_for_warp_size_vIXT2_EEEvE4typeEPT_PT0_S5_
	.globl	_Z33head_segmented_warp_reduce_kernelI12hip_bfloat16hLj64ELj1EENSt9enable_ifIXsr10test_utilsE35device_test_enabled_for_warp_size_vIXT2_EEEvE4typeEPT_PT0_S5_
	.p2align	8
	.type	_Z33head_segmented_warp_reduce_kernelI12hip_bfloat16hLj64ELj1EENSt9enable_ifIXsr10test_utilsE35device_test_enabled_for_warp_size_vIXT2_EEEvE4typeEPT_PT0_S5_,@function
_Z33head_segmented_warp_reduce_kernelI12hip_bfloat16hLj64ELj1EENSt9enable_ifIXsr10test_utilsE35device_test_enabled_for_warp_size_vIXT2_EEEvE4typeEPT_PT0_S5_: ; @_Z33head_segmented_warp_reduce_kernelI12hip_bfloat16hLj64ELj1EENSt9enable_ifIXsr10test_utilsE35device_test_enabled_for_warp_size_vIXT2_EEEvE4typeEPT_PT0_S5_
; %bb.0:
	s_load_dword s7, s[4:5], 0x24
	s_load_dwordx2 s[0:1], s[4:5], 0x0
	s_load_dwordx2 s[2:3], s[4:5], 0x10
	v_mov_b32_e32 v1, 0
	s_waitcnt lgkmcnt(0)
	s_and_b32 s4, s7, 0xffff
	s_mul_i32 s6, s6, s4
	v_add_u32_e32 v0, s6, v0
	v_lshlrev_b64 v[0:1], 1, v[0:1]
	v_mov_b32_e32 v3, s1
	v_add_co_u32_e32 v2, vcc, s0, v0
	v_addc_co_u32_e32 v3, vcc, v3, v1, vcc
	global_load_ushort v2, v[2:3], off
	v_mov_b32_e32 v3, s3
	v_add_co_u32_e32 v0, vcc, s2, v0
	v_addc_co_u32_e32 v1, vcc, v3, v1, vcc
	s_waitcnt vmcnt(0)
	global_store_short v[0:1], v2, off
	s_endpgm
	.section	.rodata,"a",@progbits
	.p2align	6, 0x0
	.amdhsa_kernel _Z33head_segmented_warp_reduce_kernelI12hip_bfloat16hLj64ELj1EENSt9enable_ifIXsr10test_utilsE35device_test_enabled_for_warp_size_vIXT2_EEEvE4typeEPT_PT0_S5_
		.amdhsa_group_segment_fixed_size 0
		.amdhsa_private_segment_fixed_size 0
		.amdhsa_kernarg_size 280
		.amdhsa_user_sgpr_count 6
		.amdhsa_user_sgpr_private_segment_buffer 1
		.amdhsa_user_sgpr_dispatch_ptr 0
		.amdhsa_user_sgpr_queue_ptr 0
		.amdhsa_user_sgpr_kernarg_segment_ptr 1
		.amdhsa_user_sgpr_dispatch_id 0
		.amdhsa_user_sgpr_flat_scratch_init 0
		.amdhsa_user_sgpr_kernarg_preload_length 0
		.amdhsa_user_sgpr_kernarg_preload_offset 0
		.amdhsa_user_sgpr_private_segment_size 0
		.amdhsa_uses_dynamic_stack 0
		.amdhsa_system_sgpr_private_segment_wavefront_offset 0
		.amdhsa_system_sgpr_workgroup_id_x 1
		.amdhsa_system_sgpr_workgroup_id_y 0
		.amdhsa_system_sgpr_workgroup_id_z 0
		.amdhsa_system_sgpr_workgroup_info 0
		.amdhsa_system_vgpr_workitem_id 0
		.amdhsa_next_free_vgpr 4
		.amdhsa_next_free_sgpr 8
		.amdhsa_accum_offset 4
		.amdhsa_reserve_vcc 1
		.amdhsa_reserve_flat_scratch 0
		.amdhsa_float_round_mode_32 0
		.amdhsa_float_round_mode_16_64 0
		.amdhsa_float_denorm_mode_32 3
		.amdhsa_float_denorm_mode_16_64 3
		.amdhsa_dx10_clamp 1
		.amdhsa_ieee_mode 1
		.amdhsa_fp16_overflow 0
		.amdhsa_tg_split 0
		.amdhsa_exception_fp_ieee_invalid_op 0
		.amdhsa_exception_fp_denorm_src 0
		.amdhsa_exception_fp_ieee_div_zero 0
		.amdhsa_exception_fp_ieee_overflow 0
		.amdhsa_exception_fp_ieee_underflow 0
		.amdhsa_exception_fp_ieee_inexact 0
		.amdhsa_exception_int_div_zero 0
	.end_amdhsa_kernel
	.section	.text._Z33head_segmented_warp_reduce_kernelI12hip_bfloat16hLj64ELj1EENSt9enable_ifIXsr10test_utilsE35device_test_enabled_for_warp_size_vIXT2_EEEvE4typeEPT_PT0_S5_,"axG",@progbits,_Z33head_segmented_warp_reduce_kernelI12hip_bfloat16hLj64ELj1EENSt9enable_ifIXsr10test_utilsE35device_test_enabled_for_warp_size_vIXT2_EEEvE4typeEPT_PT0_S5_,comdat
.Lfunc_end158:
	.size	_Z33head_segmented_warp_reduce_kernelI12hip_bfloat16hLj64ELj1EENSt9enable_ifIXsr10test_utilsE35device_test_enabled_for_warp_size_vIXT2_EEEvE4typeEPT_PT0_S5_, .Lfunc_end158-_Z33head_segmented_warp_reduce_kernelI12hip_bfloat16hLj64ELj1EENSt9enable_ifIXsr10test_utilsE35device_test_enabled_for_warp_size_vIXT2_EEEvE4typeEPT_PT0_S5_
                                        ; -- End function
	.section	.AMDGPU.csdata,"",@progbits
; Kernel info:
; codeLenInByte = 104
; NumSgprs: 12
; NumVgprs: 4
; NumAgprs: 0
; TotalNumVgprs: 4
; ScratchSize: 0
; MemoryBound: 0
; FloatMode: 240
; IeeeMode: 1
; LDSByteSize: 0 bytes/workgroup (compile time only)
; SGPRBlocks: 1
; VGPRBlocks: 0
; NumSGPRsForWavesPerEU: 12
; NumVGPRsForWavesPerEU: 4
; AccumOffset: 4
; Occupancy: 8
; WaveLimiterHint : 0
; COMPUTE_PGM_RSRC2:SCRATCH_EN: 0
; COMPUTE_PGM_RSRC2:USER_SGPR: 6
; COMPUTE_PGM_RSRC2:TRAP_HANDLER: 0
; COMPUTE_PGM_RSRC2:TGID_X_EN: 1
; COMPUTE_PGM_RSRC2:TGID_Y_EN: 0
; COMPUTE_PGM_RSRC2:TGID_Z_EN: 0
; COMPUTE_PGM_RSRC2:TIDIG_COMP_CNT: 0
; COMPUTE_PGM_RSRC3_GFX90A:ACCUM_OFFSET: 0
; COMPUTE_PGM_RSRC3_GFX90A:TG_SPLIT: 0
	.section	.text._Z33head_segmented_warp_reduce_kernelI6__halfhLj256ELj64EENSt9enable_ifIXsr10test_utilsE35device_test_enabled_for_warp_size_vIXT2_EEEvE4typeEPT_PT0_S5_,"axG",@progbits,_Z33head_segmented_warp_reduce_kernelI6__halfhLj256ELj64EENSt9enable_ifIXsr10test_utilsE35device_test_enabled_for_warp_size_vIXT2_EEEvE4typeEPT_PT0_S5_,comdat
	.protected	_Z33head_segmented_warp_reduce_kernelI6__halfhLj256ELj64EENSt9enable_ifIXsr10test_utilsE35device_test_enabled_for_warp_size_vIXT2_EEEvE4typeEPT_PT0_S5_ ; -- Begin function _Z33head_segmented_warp_reduce_kernelI6__halfhLj256ELj64EENSt9enable_ifIXsr10test_utilsE35device_test_enabled_for_warp_size_vIXT2_EEEvE4typeEPT_PT0_S5_
	.globl	_Z33head_segmented_warp_reduce_kernelI6__halfhLj256ELj64EENSt9enable_ifIXsr10test_utilsE35device_test_enabled_for_warp_size_vIXT2_EEEvE4typeEPT_PT0_S5_
	.p2align	8
	.type	_Z33head_segmented_warp_reduce_kernelI6__halfhLj256ELj64EENSt9enable_ifIXsr10test_utilsE35device_test_enabled_for_warp_size_vIXT2_EEEvE4typeEPT_PT0_S5_,@function
_Z33head_segmented_warp_reduce_kernelI6__halfhLj256ELj64EENSt9enable_ifIXsr10test_utilsE35device_test_enabled_for_warp_size_vIXT2_EEEvE4typeEPT_PT0_S5_: ; @_Z33head_segmented_warp_reduce_kernelI6__halfhLj256ELj64EENSt9enable_ifIXsr10test_utilsE35device_test_enabled_for_warp_size_vIXT2_EEEvE4typeEPT_PT0_S5_
; %bb.0:
	s_load_dword s7, s[4:5], 0x24
	s_load_dwordx4 s[0:3], s[4:5], 0x0
	s_load_dwordx2 s[8:9], s[4:5], 0x10
	v_mov_b32_e32 v3, 0
	s_waitcnt lgkmcnt(0)
	s_and_b32 s4, s7, 0xffff
	s_mul_i32 s6, s6, s4
	v_add_u32_e32 v2, s6, v0
	v_lshlrev_b64 v[0:1], 1, v[2:3]
	v_mov_b32_e32 v3, s1
	global_load_ubyte v6, v2, s[2:3]
	v_add_co_u32_e32 v2, vcc, s0, v0
	v_addc_co_u32_e32 v3, vcc, v3, v1, vcc
	global_load_ushort v2, v[2:3], off
	v_mbcnt_lo_u32_b32 v3, -1, 0
	v_mbcnt_hi_u32_b32 v10, -1, v3
	v_and_b32_e32 v7, 63, v10
	v_cmp_ne_u32_e32 vcc, 63, v7
	v_addc_co_u32_e32 v3, vcc, 0, v10, vcc
	v_cmp_gt_u32_e32 vcc, 62, v7
	v_cndmask_b32_e64 v14, 0, 1, vcc
	v_cmp_gt_u32_e32 vcc, 60, v7
	v_cndmask_b32_e64 v15, 0, 1, vcc
	;; [unrolled: 2-line block ×3, first 2 shown]
	v_lshlrev_b64 v[4:5], v10, -1
	v_lshlrev_b32_e32 v3, 2, v3
	v_add_u32_e32 v8, 1, v10
	v_lshlrev_b32_e32 v14, 1, v14
	v_add_lshl_u32 v14, v14, v10, 2
	v_add_u32_e32 v9, 2, v10
	v_add_u32_e32 v11, 4, v10
	;; [unrolled: 1-line block ×4, first 2 shown]
	s_waitcnt vmcnt(1)
	v_cmp_ne_u16_e32 vcc, 0, v6
	s_lshr_b64 s[0:1], vcc, 1
	v_and_b32_e32 v5, s1, v5
	v_or_b32_e32 v5, 0x80000000, v5
	v_and_b32_e32 v4, s0, v4
	s_waitcnt vmcnt(0)
	v_and_b32_e32 v6, 0xffff, v2
	ds_bpermute_b32 v3, v3, v6
	v_ffbl_b32_e32 v5, v5
	v_ffbl_b32_e32 v4, v4
	v_add_u32_e32 v5, 32, v5
	v_min_u32_e32 v17, v4, v5
	s_waitcnt lgkmcnt(0)
	v_add_f16_e32 v3, v2, v3
	v_cmp_le_u32_e64 s[4:5], v8, v17
	v_cndmask_b32_e64 v5, v6, v3, s[4:5]
	ds_bpermute_b32 v4, v14, v5
	v_cmp_gt_u32_e32 vcc, 48, v7
	v_cndmask_b32_e64 v14, v2, v3, s[4:5]
	v_cndmask_b32_e64 v6, 0, 1, vcc
	v_lshlrev_b32_e32 v8, 2, v15
	s_waitcnt lgkmcnt(0)
	v_add_f16_e32 v4, v4, v14
	v_cmp_le_u32_e32 vcc, v9, v17
	v_add_lshl_u32 v8, v8, v10, 2
	v_cndmask_b32_e32 v9, v5, v4, vcc
	ds_bpermute_b32 v5, v8, v9
	v_cmp_gt_u32_e64 s[0:1], 32, v7
	v_cndmask_b32_e32 v14, v14, v4, vcc
	v_cndmask_b32_e64 v7, 0, 1, s[0:1]
	v_lshlrev_b32_e32 v8, 3, v16
	s_waitcnt lgkmcnt(0)
	v_add_f16_e32 v5, v5, v14
	v_cmp_le_u32_e64 s[0:1], v11, v17
	v_add_lshl_u32 v8, v8, v10, 2
	v_cndmask_b32_e64 v9, v9, v5, s[0:1]
	ds_bpermute_b32 v8, v8, v9
	v_lshlrev_b32_e32 v6, 4, v6
	v_cndmask_b32_e64 v14, v14, v5, s[0:1]
	v_lshlrev_b32_e32 v11, 5, v7
	v_add_lshl_u32 v7, v6, v10, 2
	s_waitcnt lgkmcnt(0)
	v_add_f16_e32 v6, v8, v14
	v_cmp_le_u32_e64 s[2:3], v12, v17
	v_cndmask_b32_e64 v9, v9, v6, s[2:3]
	ds_bpermute_b32 v8, v7, v9
	s_or_b64 s[4:5], s[4:5], vcc
	s_or_b64 s[4:5], s[0:1], s[4:5]
	v_cndmask_b32_e64 v7, v14, v6, s[2:3]
	s_or_b64 s[6:7], s[2:3], s[4:5]
	s_waitcnt lgkmcnt(0)
	v_add_f16_e32 v8, v8, v7
	v_cmp_le_u32_e64 s[4:5], v13, v17
	v_cndmask_b32_e64 v9, v9, v8, s[4:5]
	v_add_lshl_u32 v11, v11, v10, 2
	ds_bpermute_b32 v9, v11, v9
	v_add_u32_e32 v10, 32, v10
	s_or_b64 s[10:11], s[4:5], s[6:7]
	v_cmp_le_u32_e64 s[6:7], v10, v17
	s_or_b64 s[12:13], s[6:7], s[10:11]
	s_and_saveexec_b64 s[10:11], s[12:13]
	s_cbranch_execz .LBB159_2
; %bb.1:
	v_cndmask_b32_e32 v2, v3, v4, vcc
	v_cndmask_b32_e64 v2, v2, v5, s[0:1]
	v_cndmask_b32_e64 v2, v2, v6, s[2:3]
	;; [unrolled: 1-line block ×4, first 2 shown]
	s_waitcnt lgkmcnt(0)
	v_add_f16_e32 v3, v9, v3
	v_cndmask_b32_e64 v2, v2, v3, s[6:7]
.LBB159_2:
	s_or_b64 exec, exec, s[10:11]
	v_mov_b32_e32 v3, s9
	v_add_co_u32_e32 v0, vcc, s8, v0
	v_addc_co_u32_e32 v1, vcc, v3, v1, vcc
	global_store_short v[0:1], v2, off
	s_endpgm
	.section	.rodata,"a",@progbits
	.p2align	6, 0x0
	.amdhsa_kernel _Z33head_segmented_warp_reduce_kernelI6__halfhLj256ELj64EENSt9enable_ifIXsr10test_utilsE35device_test_enabled_for_warp_size_vIXT2_EEEvE4typeEPT_PT0_S5_
		.amdhsa_group_segment_fixed_size 0
		.amdhsa_private_segment_fixed_size 0
		.amdhsa_kernarg_size 280
		.amdhsa_user_sgpr_count 6
		.amdhsa_user_sgpr_private_segment_buffer 1
		.amdhsa_user_sgpr_dispatch_ptr 0
		.amdhsa_user_sgpr_queue_ptr 0
		.amdhsa_user_sgpr_kernarg_segment_ptr 1
		.amdhsa_user_sgpr_dispatch_id 0
		.amdhsa_user_sgpr_flat_scratch_init 0
		.amdhsa_user_sgpr_kernarg_preload_length 0
		.amdhsa_user_sgpr_kernarg_preload_offset 0
		.amdhsa_user_sgpr_private_segment_size 0
		.amdhsa_uses_dynamic_stack 0
		.amdhsa_system_sgpr_private_segment_wavefront_offset 0
		.amdhsa_system_sgpr_workgroup_id_x 1
		.amdhsa_system_sgpr_workgroup_id_y 0
		.amdhsa_system_sgpr_workgroup_id_z 0
		.amdhsa_system_sgpr_workgroup_info 0
		.amdhsa_system_vgpr_workitem_id 0
		.amdhsa_next_free_vgpr 18
		.amdhsa_next_free_sgpr 14
		.amdhsa_accum_offset 20
		.amdhsa_reserve_vcc 1
		.amdhsa_reserve_flat_scratch 0
		.amdhsa_float_round_mode_32 0
		.amdhsa_float_round_mode_16_64 0
		.amdhsa_float_denorm_mode_32 3
		.amdhsa_float_denorm_mode_16_64 3
		.amdhsa_dx10_clamp 1
		.amdhsa_ieee_mode 1
		.amdhsa_fp16_overflow 0
		.amdhsa_tg_split 0
		.amdhsa_exception_fp_ieee_invalid_op 0
		.amdhsa_exception_fp_denorm_src 0
		.amdhsa_exception_fp_ieee_div_zero 0
		.amdhsa_exception_fp_ieee_overflow 0
		.amdhsa_exception_fp_ieee_underflow 0
		.amdhsa_exception_fp_ieee_inexact 0
		.amdhsa_exception_int_div_zero 0
	.end_amdhsa_kernel
	.section	.text._Z33head_segmented_warp_reduce_kernelI6__halfhLj256ELj64EENSt9enable_ifIXsr10test_utilsE35device_test_enabled_for_warp_size_vIXT2_EEEvE4typeEPT_PT0_S5_,"axG",@progbits,_Z33head_segmented_warp_reduce_kernelI6__halfhLj256ELj64EENSt9enable_ifIXsr10test_utilsE35device_test_enabled_for_warp_size_vIXT2_EEEvE4typeEPT_PT0_S5_,comdat
.Lfunc_end159:
	.size	_Z33head_segmented_warp_reduce_kernelI6__halfhLj256ELj64EENSt9enable_ifIXsr10test_utilsE35device_test_enabled_for_warp_size_vIXT2_EEEvE4typeEPT_PT0_S5_, .Lfunc_end159-_Z33head_segmented_warp_reduce_kernelI6__halfhLj256ELj64EENSt9enable_ifIXsr10test_utilsE35device_test_enabled_for_warp_size_vIXT2_EEEvE4typeEPT_PT0_S5_
                                        ; -- End function
	.section	.AMDGPU.csdata,"",@progbits
; Kernel info:
; codeLenInByte = 632
; NumSgprs: 18
; NumVgprs: 18
; NumAgprs: 0
; TotalNumVgprs: 18
; ScratchSize: 0
; MemoryBound: 0
; FloatMode: 240
; IeeeMode: 1
; LDSByteSize: 0 bytes/workgroup (compile time only)
; SGPRBlocks: 2
; VGPRBlocks: 2
; NumSGPRsForWavesPerEU: 18
; NumVGPRsForWavesPerEU: 18
; AccumOffset: 20
; Occupancy: 8
; WaveLimiterHint : 0
; COMPUTE_PGM_RSRC2:SCRATCH_EN: 0
; COMPUTE_PGM_RSRC2:USER_SGPR: 6
; COMPUTE_PGM_RSRC2:TRAP_HANDLER: 0
; COMPUTE_PGM_RSRC2:TGID_X_EN: 1
; COMPUTE_PGM_RSRC2:TGID_Y_EN: 0
; COMPUTE_PGM_RSRC2:TGID_Z_EN: 0
; COMPUTE_PGM_RSRC2:TIDIG_COMP_CNT: 0
; COMPUTE_PGM_RSRC3_GFX90A:ACCUM_OFFSET: 4
; COMPUTE_PGM_RSRC3_GFX90A:TG_SPLIT: 0
	.section	.text._Z33head_segmented_warp_reduce_kernelI6__halfhLj128ELj32EENSt9enable_ifIXsr10test_utilsE35device_test_enabled_for_warp_size_vIXT2_EEEvE4typeEPT_PT0_S5_,"axG",@progbits,_Z33head_segmented_warp_reduce_kernelI6__halfhLj128ELj32EENSt9enable_ifIXsr10test_utilsE35device_test_enabled_for_warp_size_vIXT2_EEEvE4typeEPT_PT0_S5_,comdat
	.protected	_Z33head_segmented_warp_reduce_kernelI6__halfhLj128ELj32EENSt9enable_ifIXsr10test_utilsE35device_test_enabled_for_warp_size_vIXT2_EEEvE4typeEPT_PT0_S5_ ; -- Begin function _Z33head_segmented_warp_reduce_kernelI6__halfhLj128ELj32EENSt9enable_ifIXsr10test_utilsE35device_test_enabled_for_warp_size_vIXT2_EEEvE4typeEPT_PT0_S5_
	.globl	_Z33head_segmented_warp_reduce_kernelI6__halfhLj128ELj32EENSt9enable_ifIXsr10test_utilsE35device_test_enabled_for_warp_size_vIXT2_EEEvE4typeEPT_PT0_S5_
	.p2align	8
	.type	_Z33head_segmented_warp_reduce_kernelI6__halfhLj128ELj32EENSt9enable_ifIXsr10test_utilsE35device_test_enabled_for_warp_size_vIXT2_EEEvE4typeEPT_PT0_S5_,@function
_Z33head_segmented_warp_reduce_kernelI6__halfhLj128ELj32EENSt9enable_ifIXsr10test_utilsE35device_test_enabled_for_warp_size_vIXT2_EEEvE4typeEPT_PT0_S5_: ; @_Z33head_segmented_warp_reduce_kernelI6__halfhLj128ELj32EENSt9enable_ifIXsr10test_utilsE35device_test_enabled_for_warp_size_vIXT2_EEEvE4typeEPT_PT0_S5_
; %bb.0:
	s_load_dword s7, s[4:5], 0x24
	s_load_dwordx4 s[0:3], s[4:5], 0x0
	s_load_dwordx2 s[8:9], s[4:5], 0x10
	v_mov_b32_e32 v3, 0
	s_waitcnt lgkmcnt(0)
	s_and_b32 s4, s7, 0xffff
	s_mul_i32 s6, s6, s4
	v_add_u32_e32 v2, s6, v0
	v_lshlrev_b64 v[0:1], 1, v[2:3]
	v_mov_b32_e32 v3, s1
	global_load_ubyte v6, v2, s[2:3]
	v_add_co_u32_e32 v2, vcc, s0, v0
	v_addc_co_u32_e32 v3, vcc, v3, v1, vcc
	global_load_ushort v2, v[2:3], off
	v_mbcnt_lo_u32_b32 v3, -1, 0
	v_mbcnt_hi_u32_b32 v10, -1, v3
	v_and_b32_e32 v3, 31, v10
	v_cmp_ne_u32_e32 vcc, 31, v3
	v_addc_co_u32_e32 v8, vcc, 0, v10, vcc
	v_cmp_gt_u32_e32 vcc, 30, v3
	v_cndmask_b32_e64 v11, 0, 1, vcc
	v_cmp_gt_u32_e32 vcc, 28, v3
	v_cndmask_b32_e64 v13, 0, 1, vcc
	v_lshlrev_b64 v[4:5], v10, -1
	v_and_b32_e32 v7, 0x60, v10
	v_lshlrev_b32_e32 v8, 2, v8
	v_lshlrev_b32_e32 v11, 1, v11
	v_add_lshl_u32 v11, v11, v10, 2
	v_add_u32_e32 v9, 2, v3
	v_add_u32_e32 v12, 4, v3
	v_cmp_gt_u32_e64 s[2:3], 16, v3
	s_waitcnt vmcnt(1)
	v_cmp_ne_u16_e32 vcc, 0, v6
	s_lshr_b64 s[0:1], vcc, 1
	v_and_b32_e32 v5, s1, v5
	v_and_b32_e32 v4, s0, v4
	v_lshrrev_b64 v[4:5], v7, v[4:5]
	s_waitcnt vmcnt(0)
	v_and_b32_e32 v6, 0xffff, v2
	ds_bpermute_b32 v7, v8, v6
	v_or_b32_e32 v4, 0x80000000, v4
	v_ffbl_b32_e32 v5, v5
	v_add_u32_e32 v5, 32, v5
	v_ffbl_b32_e32 v4, v4
	v_min_u32_e32 v4, v4, v5
	s_waitcnt lgkmcnt(0)
	v_add_f16_e32 v5, v2, v7
	v_cmp_lt_u32_e64 s[4:5], v3, v4
	v_cndmask_b32_e64 v7, v6, v5, s[4:5]
	ds_bpermute_b32 v6, v11, v7
	v_lshlrev_b32_e32 v8, 2, v13
	v_cndmask_b32_e64 v13, v2, v5, s[4:5]
	v_cmp_gt_u32_e32 vcc, v9, v4
	v_add_lshl_u32 v8, v8, v10, 2
	s_waitcnt lgkmcnt(0)
	v_add_f16_e32 v6, v6, v13
	v_cndmask_b32_e32 v9, v6, v7, vcc
	ds_bpermute_b32 v7, v8, v9
	v_cmp_gt_u32_e64 s[0:1], 24, v3
	v_cndmask_b32_e64 v8, 0, 1, s[0:1]
	v_cndmask_b32_e32 v13, v6, v13, vcc
	v_lshlrev_b32_e32 v8, 3, v8
	s_waitcnt lgkmcnt(0)
	v_add_f16_e32 v7, v7, v13
	v_cmp_gt_u32_e64 s[0:1], v12, v4
	v_add_lshl_u32 v8, v8, v10, 2
	v_cndmask_b32_e64 v12, v7, v9, s[0:1]
	ds_bpermute_b32 v9, v8, v12
	v_cndmask_b32_e64 v8, 0, 1, s[2:3]
	v_add_u32_e32 v11, 8, v3
	v_lshlrev_b32_e32 v14, 4, v8
	v_cndmask_b32_e64 v8, v7, v13, s[0:1]
	s_waitcnt lgkmcnt(0)
	v_add_f16_e32 v9, v9, v8
	v_cmp_gt_u32_e64 s[2:3], v11, v4
	v_cndmask_b32_e64 v11, v9, v12, s[2:3]
	v_add_lshl_u32 v10, v14, v10, 2
	ds_bpermute_b32 v10, v10, v11
	s_and_saveexec_b64 s[6:7], s[4:5]
	s_cbranch_execz .LBB160_2
; %bb.1:
	v_add_u32_e32 v2, 16, v3
	v_cndmask_b32_e32 v3, v6, v5, vcc
	v_cndmask_b32_e64 v3, v7, v3, s[0:1]
	v_cndmask_b32_e64 v5, v9, v8, s[2:3]
	;; [unrolled: 1-line block ×3, first 2 shown]
	s_waitcnt lgkmcnt(0)
	v_add_f16_e32 v5, v10, v5
	v_cmp_gt_u32_e32 vcc, v2, v4
	v_cndmask_b32_e32 v2, v5, v3, vcc
.LBB160_2:
	s_or_b64 exec, exec, s[6:7]
	v_mov_b32_e32 v3, s9
	v_add_co_u32_e32 v0, vcc, s8, v0
	v_addc_co_u32_e32 v1, vcc, v3, v1, vcc
	global_store_short v[0:1], v2, off
	s_endpgm
	.section	.rodata,"a",@progbits
	.p2align	6, 0x0
	.amdhsa_kernel _Z33head_segmented_warp_reduce_kernelI6__halfhLj128ELj32EENSt9enable_ifIXsr10test_utilsE35device_test_enabled_for_warp_size_vIXT2_EEEvE4typeEPT_PT0_S5_
		.amdhsa_group_segment_fixed_size 0
		.amdhsa_private_segment_fixed_size 0
		.amdhsa_kernarg_size 280
		.amdhsa_user_sgpr_count 6
		.amdhsa_user_sgpr_private_segment_buffer 1
		.amdhsa_user_sgpr_dispatch_ptr 0
		.amdhsa_user_sgpr_queue_ptr 0
		.amdhsa_user_sgpr_kernarg_segment_ptr 1
		.amdhsa_user_sgpr_dispatch_id 0
		.amdhsa_user_sgpr_flat_scratch_init 0
		.amdhsa_user_sgpr_kernarg_preload_length 0
		.amdhsa_user_sgpr_kernarg_preload_offset 0
		.amdhsa_user_sgpr_private_segment_size 0
		.amdhsa_uses_dynamic_stack 0
		.amdhsa_system_sgpr_private_segment_wavefront_offset 0
		.amdhsa_system_sgpr_workgroup_id_x 1
		.amdhsa_system_sgpr_workgroup_id_y 0
		.amdhsa_system_sgpr_workgroup_id_z 0
		.amdhsa_system_sgpr_workgroup_info 0
		.amdhsa_system_vgpr_workitem_id 0
		.amdhsa_next_free_vgpr 15
		.amdhsa_next_free_sgpr 10
		.amdhsa_accum_offset 16
		.amdhsa_reserve_vcc 1
		.amdhsa_reserve_flat_scratch 0
		.amdhsa_float_round_mode_32 0
		.amdhsa_float_round_mode_16_64 0
		.amdhsa_float_denorm_mode_32 3
		.amdhsa_float_denorm_mode_16_64 3
		.amdhsa_dx10_clamp 1
		.amdhsa_ieee_mode 1
		.amdhsa_fp16_overflow 0
		.amdhsa_tg_split 0
		.amdhsa_exception_fp_ieee_invalid_op 0
		.amdhsa_exception_fp_denorm_src 0
		.amdhsa_exception_fp_ieee_div_zero 0
		.amdhsa_exception_fp_ieee_overflow 0
		.amdhsa_exception_fp_ieee_underflow 0
		.amdhsa_exception_fp_ieee_inexact 0
		.amdhsa_exception_int_div_zero 0
	.end_amdhsa_kernel
	.section	.text._Z33head_segmented_warp_reduce_kernelI6__halfhLj128ELj32EENSt9enable_ifIXsr10test_utilsE35device_test_enabled_for_warp_size_vIXT2_EEEvE4typeEPT_PT0_S5_,"axG",@progbits,_Z33head_segmented_warp_reduce_kernelI6__halfhLj128ELj32EENSt9enable_ifIXsr10test_utilsE35device_test_enabled_for_warp_size_vIXT2_EEEvE4typeEPT_PT0_S5_,comdat
.Lfunc_end160:
	.size	_Z33head_segmented_warp_reduce_kernelI6__halfhLj128ELj32EENSt9enable_ifIXsr10test_utilsE35device_test_enabled_for_warp_size_vIXT2_EEEvE4typeEPT_PT0_S5_, .Lfunc_end160-_Z33head_segmented_warp_reduce_kernelI6__halfhLj128ELj32EENSt9enable_ifIXsr10test_utilsE35device_test_enabled_for_warp_size_vIXT2_EEEvE4typeEPT_PT0_S5_
                                        ; -- End function
	.section	.AMDGPU.csdata,"",@progbits
; Kernel info:
; codeLenInByte = 544
; NumSgprs: 14
; NumVgprs: 15
; NumAgprs: 0
; TotalNumVgprs: 15
; ScratchSize: 0
; MemoryBound: 0
; FloatMode: 240
; IeeeMode: 1
; LDSByteSize: 0 bytes/workgroup (compile time only)
; SGPRBlocks: 1
; VGPRBlocks: 1
; NumSGPRsForWavesPerEU: 14
; NumVGPRsForWavesPerEU: 15
; AccumOffset: 16
; Occupancy: 8
; WaveLimiterHint : 0
; COMPUTE_PGM_RSRC2:SCRATCH_EN: 0
; COMPUTE_PGM_RSRC2:USER_SGPR: 6
; COMPUTE_PGM_RSRC2:TRAP_HANDLER: 0
; COMPUTE_PGM_RSRC2:TGID_X_EN: 1
; COMPUTE_PGM_RSRC2:TGID_Y_EN: 0
; COMPUTE_PGM_RSRC2:TGID_Z_EN: 0
; COMPUTE_PGM_RSRC2:TIDIG_COMP_CNT: 0
; COMPUTE_PGM_RSRC3_GFX90A:ACCUM_OFFSET: 3
; COMPUTE_PGM_RSRC3_GFX90A:TG_SPLIT: 0
	.section	.text._Z33head_segmented_warp_reduce_kernelI6__halfhLj64ELj16EENSt9enable_ifIXsr10test_utilsE35device_test_enabled_for_warp_size_vIXT2_EEEvE4typeEPT_PT0_S5_,"axG",@progbits,_Z33head_segmented_warp_reduce_kernelI6__halfhLj64ELj16EENSt9enable_ifIXsr10test_utilsE35device_test_enabled_for_warp_size_vIXT2_EEEvE4typeEPT_PT0_S5_,comdat
	.protected	_Z33head_segmented_warp_reduce_kernelI6__halfhLj64ELj16EENSt9enable_ifIXsr10test_utilsE35device_test_enabled_for_warp_size_vIXT2_EEEvE4typeEPT_PT0_S5_ ; -- Begin function _Z33head_segmented_warp_reduce_kernelI6__halfhLj64ELj16EENSt9enable_ifIXsr10test_utilsE35device_test_enabled_for_warp_size_vIXT2_EEEvE4typeEPT_PT0_S5_
	.globl	_Z33head_segmented_warp_reduce_kernelI6__halfhLj64ELj16EENSt9enable_ifIXsr10test_utilsE35device_test_enabled_for_warp_size_vIXT2_EEEvE4typeEPT_PT0_S5_
	.p2align	8
	.type	_Z33head_segmented_warp_reduce_kernelI6__halfhLj64ELj16EENSt9enable_ifIXsr10test_utilsE35device_test_enabled_for_warp_size_vIXT2_EEEvE4typeEPT_PT0_S5_,@function
_Z33head_segmented_warp_reduce_kernelI6__halfhLj64ELj16EENSt9enable_ifIXsr10test_utilsE35device_test_enabled_for_warp_size_vIXT2_EEEvE4typeEPT_PT0_S5_: ; @_Z33head_segmented_warp_reduce_kernelI6__halfhLj64ELj16EENSt9enable_ifIXsr10test_utilsE35device_test_enabled_for_warp_size_vIXT2_EEEvE4typeEPT_PT0_S5_
; %bb.0:
	s_load_dword s7, s[4:5], 0x24
	s_load_dwordx4 s[0:3], s[4:5], 0x0
	s_load_dwordx2 s[8:9], s[4:5], 0x10
	v_mov_b32_e32 v3, 0
	s_waitcnt lgkmcnt(0)
	s_and_b32 s4, s7, 0xffff
	s_mul_i32 s6, s6, s4
	v_add_u32_e32 v2, s6, v0
	v_lshlrev_b64 v[0:1], 1, v[2:3]
	v_mov_b32_e32 v3, s1
	global_load_ubyte v6, v2, s[2:3]
	v_add_co_u32_e32 v2, vcc, s0, v0
	v_addc_co_u32_e32 v3, vcc, v3, v1, vcc
	global_load_ushort v2, v[2:3], off
	v_mbcnt_lo_u32_b32 v3, -1, 0
	v_mbcnt_hi_u32_b32 v9, -1, v3
	v_and_b32_e32 v3, 15, v9
	v_cmp_ne_u32_e32 vcc, 15, v3
	v_addc_co_u32_e32 v8, vcc, 0, v9, vcc
	v_cmp_gt_u32_e32 vcc, 14, v3
	v_cndmask_b32_e64 v11, 0, 1, vcc
	v_lshlrev_b64 v[4:5], v9, -1
	v_and_b32_e32 v7, 0x70, v9
	v_lshlrev_b32_e32 v8, 2, v8
	v_lshlrev_b32_e32 v11, 1, v11
	v_add_lshl_u32 v11, v11, v9, 2
	v_add_u32_e32 v10, 2, v3
	v_add_u32_e32 v12, 4, v3
	s_waitcnt vmcnt(1)
	v_cmp_ne_u16_e32 vcc, 0, v6
	s_lshr_b64 s[0:1], vcc, 1
	v_and_b32_e32 v5, s1, v5
	v_and_b32_e32 v4, s0, v4
	v_lshrrev_b64 v[4:5], v7, v[4:5]
	s_waitcnt vmcnt(0)
	v_and_b32_e32 v6, 0xffff, v2
	ds_bpermute_b32 v7, v8, v6
	v_or_b32_e32 v4, 0x8000, v4
	v_ffbl_b32_e32 v5, v5
	v_add_u32_e32 v5, 32, v5
	v_ffbl_b32_e32 v4, v4
	v_min_u32_e32 v4, v4, v5
	s_waitcnt lgkmcnt(0)
	v_add_f16_e32 v5, v2, v7
	v_cmp_lt_u32_e64 s[2:3], v3, v4
	v_cndmask_b32_e64 v7, v6, v5, s[2:3]
	ds_bpermute_b32 v6, v11, v7
	v_cmp_gt_u32_e32 vcc, 12, v3
	v_cndmask_b32_e64 v8, 0, 1, vcc
	v_cndmask_b32_e64 v11, v2, v5, s[2:3]
	v_lshlrev_b32_e32 v8, 2, v8
	s_waitcnt lgkmcnt(0)
	v_add_f16_e32 v6, v6, v11
	v_cmp_gt_u32_e32 vcc, v10, v4
	v_add_lshl_u32 v8, v8, v9, 2
	v_cndmask_b32_e32 v10, v6, v7, vcc
	ds_bpermute_b32 v8, v8, v10
	v_cmp_gt_u32_e64 s[0:1], 8, v3
	v_cndmask_b32_e64 v7, 0, 1, s[0:1]
	v_lshlrev_b32_e32 v13, 3, v7
	v_cndmask_b32_e32 v7, v6, v11, vcc
	s_waitcnt lgkmcnt(0)
	v_add_f16_e32 v8, v8, v7
	v_cmp_gt_u32_e64 s[0:1], v12, v4
	v_cndmask_b32_e64 v10, v8, v10, s[0:1]
	v_add_lshl_u32 v9, v13, v9, 2
	ds_bpermute_b32 v9, v9, v10
	s_and_saveexec_b64 s[4:5], s[2:3]
	s_cbranch_execz .LBB161_2
; %bb.1:
	v_add_u32_e32 v2, 8, v3
	v_cndmask_b32_e32 v3, v6, v5, vcc
	v_cndmask_b32_e64 v5, v8, v7, s[0:1]
	v_cndmask_b32_e64 v3, v8, v3, s[0:1]
	s_waitcnt lgkmcnt(0)
	v_add_f16_e32 v5, v9, v5
	v_cmp_gt_u32_e32 vcc, v2, v4
	v_cndmask_b32_e32 v2, v5, v3, vcc
.LBB161_2:
	s_or_b64 exec, exec, s[4:5]
	v_mov_b32_e32 v3, s9
	v_add_co_u32_e32 v0, vcc, s8, v0
	v_addc_co_u32_e32 v1, vcc, v3, v1, vcc
	global_store_short v[0:1], v2, off
	s_endpgm
	.section	.rodata,"a",@progbits
	.p2align	6, 0x0
	.amdhsa_kernel _Z33head_segmented_warp_reduce_kernelI6__halfhLj64ELj16EENSt9enable_ifIXsr10test_utilsE35device_test_enabled_for_warp_size_vIXT2_EEEvE4typeEPT_PT0_S5_
		.amdhsa_group_segment_fixed_size 0
		.amdhsa_private_segment_fixed_size 0
		.amdhsa_kernarg_size 280
		.amdhsa_user_sgpr_count 6
		.amdhsa_user_sgpr_private_segment_buffer 1
		.amdhsa_user_sgpr_dispatch_ptr 0
		.amdhsa_user_sgpr_queue_ptr 0
		.amdhsa_user_sgpr_kernarg_segment_ptr 1
		.amdhsa_user_sgpr_dispatch_id 0
		.amdhsa_user_sgpr_flat_scratch_init 0
		.amdhsa_user_sgpr_kernarg_preload_length 0
		.amdhsa_user_sgpr_kernarg_preload_offset 0
		.amdhsa_user_sgpr_private_segment_size 0
		.amdhsa_uses_dynamic_stack 0
		.amdhsa_system_sgpr_private_segment_wavefront_offset 0
		.amdhsa_system_sgpr_workgroup_id_x 1
		.amdhsa_system_sgpr_workgroup_id_y 0
		.amdhsa_system_sgpr_workgroup_id_z 0
		.amdhsa_system_sgpr_workgroup_info 0
		.amdhsa_system_vgpr_workitem_id 0
		.amdhsa_next_free_vgpr 14
		.amdhsa_next_free_sgpr 10
		.amdhsa_accum_offset 16
		.amdhsa_reserve_vcc 1
		.amdhsa_reserve_flat_scratch 0
		.amdhsa_float_round_mode_32 0
		.amdhsa_float_round_mode_16_64 0
		.amdhsa_float_denorm_mode_32 3
		.amdhsa_float_denorm_mode_16_64 3
		.amdhsa_dx10_clamp 1
		.amdhsa_ieee_mode 1
		.amdhsa_fp16_overflow 0
		.amdhsa_tg_split 0
		.amdhsa_exception_fp_ieee_invalid_op 0
		.amdhsa_exception_fp_denorm_src 0
		.amdhsa_exception_fp_ieee_div_zero 0
		.amdhsa_exception_fp_ieee_overflow 0
		.amdhsa_exception_fp_ieee_underflow 0
		.amdhsa_exception_fp_ieee_inexact 0
		.amdhsa_exception_int_div_zero 0
	.end_amdhsa_kernel
	.section	.text._Z33head_segmented_warp_reduce_kernelI6__halfhLj64ELj16EENSt9enable_ifIXsr10test_utilsE35device_test_enabled_for_warp_size_vIXT2_EEEvE4typeEPT_PT0_S5_,"axG",@progbits,_Z33head_segmented_warp_reduce_kernelI6__halfhLj64ELj16EENSt9enable_ifIXsr10test_utilsE35device_test_enabled_for_warp_size_vIXT2_EEEvE4typeEPT_PT0_S5_,comdat
.Lfunc_end161:
	.size	_Z33head_segmented_warp_reduce_kernelI6__halfhLj64ELj16EENSt9enable_ifIXsr10test_utilsE35device_test_enabled_for_warp_size_vIXT2_EEEvE4typeEPT_PT0_S5_, .Lfunc_end161-_Z33head_segmented_warp_reduce_kernelI6__halfhLj64ELj16EENSt9enable_ifIXsr10test_utilsE35device_test_enabled_for_warp_size_vIXT2_EEEvE4typeEPT_PT0_S5_
                                        ; -- End function
	.section	.AMDGPU.csdata,"",@progbits
; Kernel info:
; codeLenInByte = 464
; NumSgprs: 14
; NumVgprs: 14
; NumAgprs: 0
; TotalNumVgprs: 14
; ScratchSize: 0
; MemoryBound: 0
; FloatMode: 240
; IeeeMode: 1
; LDSByteSize: 0 bytes/workgroup (compile time only)
; SGPRBlocks: 1
; VGPRBlocks: 1
; NumSGPRsForWavesPerEU: 14
; NumVGPRsForWavesPerEU: 14
; AccumOffset: 16
; Occupancy: 8
; WaveLimiterHint : 0
; COMPUTE_PGM_RSRC2:SCRATCH_EN: 0
; COMPUTE_PGM_RSRC2:USER_SGPR: 6
; COMPUTE_PGM_RSRC2:TRAP_HANDLER: 0
; COMPUTE_PGM_RSRC2:TGID_X_EN: 1
; COMPUTE_PGM_RSRC2:TGID_Y_EN: 0
; COMPUTE_PGM_RSRC2:TGID_Z_EN: 0
; COMPUTE_PGM_RSRC2:TIDIG_COMP_CNT: 0
; COMPUTE_PGM_RSRC3_GFX90A:ACCUM_OFFSET: 3
; COMPUTE_PGM_RSRC3_GFX90A:TG_SPLIT: 0
	.section	.text._Z33head_segmented_warp_reduce_kernelI6__halfhLj32ELj8EENSt9enable_ifIXsr10test_utilsE35device_test_enabled_for_warp_size_vIXT2_EEEvE4typeEPT_PT0_S5_,"axG",@progbits,_Z33head_segmented_warp_reduce_kernelI6__halfhLj32ELj8EENSt9enable_ifIXsr10test_utilsE35device_test_enabled_for_warp_size_vIXT2_EEEvE4typeEPT_PT0_S5_,comdat
	.protected	_Z33head_segmented_warp_reduce_kernelI6__halfhLj32ELj8EENSt9enable_ifIXsr10test_utilsE35device_test_enabled_for_warp_size_vIXT2_EEEvE4typeEPT_PT0_S5_ ; -- Begin function _Z33head_segmented_warp_reduce_kernelI6__halfhLj32ELj8EENSt9enable_ifIXsr10test_utilsE35device_test_enabled_for_warp_size_vIXT2_EEEvE4typeEPT_PT0_S5_
	.globl	_Z33head_segmented_warp_reduce_kernelI6__halfhLj32ELj8EENSt9enable_ifIXsr10test_utilsE35device_test_enabled_for_warp_size_vIXT2_EEEvE4typeEPT_PT0_S5_
	.p2align	8
	.type	_Z33head_segmented_warp_reduce_kernelI6__halfhLj32ELj8EENSt9enable_ifIXsr10test_utilsE35device_test_enabled_for_warp_size_vIXT2_EEEvE4typeEPT_PT0_S5_,@function
_Z33head_segmented_warp_reduce_kernelI6__halfhLj32ELj8EENSt9enable_ifIXsr10test_utilsE35device_test_enabled_for_warp_size_vIXT2_EEEvE4typeEPT_PT0_S5_: ; @_Z33head_segmented_warp_reduce_kernelI6__halfhLj32ELj8EENSt9enable_ifIXsr10test_utilsE35device_test_enabled_for_warp_size_vIXT2_EEEvE4typeEPT_PT0_S5_
; %bb.0:
	s_load_dword s0, s[4:5], 0x24
	s_load_dwordx4 s[8:11], s[4:5], 0x0
	s_load_dwordx2 s[2:3], s[4:5], 0x10
	v_mov_b32_e32 v1, 0
	s_waitcnt lgkmcnt(0)
	s_and_b32 s0, s0, 0xffff
	s_mul_i32 s6, s6, s0
	v_add_u32_e32 v0, s6, v0
	v_lshlrev_b64 v[2:3], 1, v[0:1]
	v_mov_b32_e32 v1, s9
	global_load_ubyte v4, v0, s[10:11]
	v_add_co_u32_e32 v0, vcc, s8, v2
	v_addc_co_u32_e32 v1, vcc, v1, v3, vcc
	global_load_ushort v5, v[0:1], off
	v_mbcnt_lo_u32_b32 v0, -1, 0
	v_mbcnt_hi_u32_b32 v6, -1, v0
	v_and_b32_e32 v8, 7, v6
	v_cmp_ne_u32_e32 vcc, 7, v8
	v_addc_co_u32_e32 v9, vcc, 0, v6, vcc
	v_cmp_gt_u32_e32 vcc, 6, v8
	v_cndmask_b32_e64 v11, 0, 1, vcc
	v_lshlrev_b64 v[0:1], v6, -1
	v_and_b32_e32 v7, 0x78, v6
	v_lshlrev_b32_e32 v9, 2, v9
	v_lshlrev_b32_e32 v11, 1, v11
	v_add_lshl_u32 v11, v11, v6, 2
	v_add_u32_e32 v10, 2, v8
	v_add_u32_e32 v12, 4, v8
	s_waitcnt vmcnt(1)
	v_cmp_ne_u16_e32 vcc, 0, v4
	s_lshr_b64 s[0:1], vcc, 1
	v_and_b32_e32 v1, s1, v1
	v_and_b32_e32 v0, s0, v0
	v_lshrrev_b64 v[0:1], v7, v[0:1]
	s_waitcnt vmcnt(0)
	v_and_b32_e32 v4, 0xffff, v5
	ds_bpermute_b32 v7, v9, v4
	v_or_b32_e32 v0, 0x80, v0
	v_ffbl_b32_e32 v1, v1
	v_add_u32_e32 v1, 32, v1
	v_ffbl_b32_e32 v0, v0
	v_min_u32_e32 v0, v0, v1
	s_waitcnt lgkmcnt(0)
	v_add_f16_e32 v1, v5, v7
	v_cmp_lt_u32_e32 vcc, v8, v0
	v_cndmask_b32_e32 v4, v4, v1, vcc
	ds_bpermute_b32 v7, v11, v4
	v_cmp_gt_u32_e64 s[0:1], 4, v8
	v_cndmask_b32_e64 v8, 0, 1, s[0:1]
	v_lshlrev_b32_e32 v8, 2, v8
	v_add_lshl_u32 v6, v8, v6, 2
	v_cndmask_b32_e32 v8, v5, v1, vcc
	s_waitcnt lgkmcnt(0)
	v_add_f16_e32 v7, v7, v8
	v_cmp_gt_u32_e64 s[0:1], v10, v0
	v_cndmask_b32_e64 v4, v7, v4, s[0:1]
	ds_bpermute_b32 v4, v6, v4
	v_cndmask_b32_e64 v1, v7, v1, s[0:1]
	v_cndmask_b32_e64 v7, v7, v8, s[0:1]
	v_cndmask_b32_e32 v1, v5, v1, vcc
	v_cmp_gt_u32_e32 vcc, v12, v0
	s_waitcnt lgkmcnt(0)
	v_add_f16_e32 v4, v4, v7
	v_mov_b32_e32 v6, s3
	v_cndmask_b32_e32 v4, v4, v1, vcc
	v_add_co_u32_e32 v0, vcc, s2, v2
	v_addc_co_u32_e32 v1, vcc, v6, v3, vcc
	global_store_short v[0:1], v4, off
	s_endpgm
	.section	.rodata,"a",@progbits
	.p2align	6, 0x0
	.amdhsa_kernel _Z33head_segmented_warp_reduce_kernelI6__halfhLj32ELj8EENSt9enable_ifIXsr10test_utilsE35device_test_enabled_for_warp_size_vIXT2_EEEvE4typeEPT_PT0_S5_
		.amdhsa_group_segment_fixed_size 0
		.amdhsa_private_segment_fixed_size 0
		.amdhsa_kernarg_size 280
		.amdhsa_user_sgpr_count 6
		.amdhsa_user_sgpr_private_segment_buffer 1
		.amdhsa_user_sgpr_dispatch_ptr 0
		.amdhsa_user_sgpr_queue_ptr 0
		.amdhsa_user_sgpr_kernarg_segment_ptr 1
		.amdhsa_user_sgpr_dispatch_id 0
		.amdhsa_user_sgpr_flat_scratch_init 0
		.amdhsa_user_sgpr_kernarg_preload_length 0
		.amdhsa_user_sgpr_kernarg_preload_offset 0
		.amdhsa_user_sgpr_private_segment_size 0
		.amdhsa_uses_dynamic_stack 0
		.amdhsa_system_sgpr_private_segment_wavefront_offset 0
		.amdhsa_system_sgpr_workgroup_id_x 1
		.amdhsa_system_sgpr_workgroup_id_y 0
		.amdhsa_system_sgpr_workgroup_id_z 0
		.amdhsa_system_sgpr_workgroup_info 0
		.amdhsa_system_vgpr_workitem_id 0
		.amdhsa_next_free_vgpr 13
		.amdhsa_next_free_sgpr 12
		.amdhsa_accum_offset 16
		.amdhsa_reserve_vcc 1
		.amdhsa_reserve_flat_scratch 0
		.amdhsa_float_round_mode_32 0
		.amdhsa_float_round_mode_16_64 0
		.amdhsa_float_denorm_mode_32 3
		.amdhsa_float_denorm_mode_16_64 3
		.amdhsa_dx10_clamp 1
		.amdhsa_ieee_mode 1
		.amdhsa_fp16_overflow 0
		.amdhsa_tg_split 0
		.amdhsa_exception_fp_ieee_invalid_op 0
		.amdhsa_exception_fp_denorm_src 0
		.amdhsa_exception_fp_ieee_div_zero 0
		.amdhsa_exception_fp_ieee_overflow 0
		.amdhsa_exception_fp_ieee_underflow 0
		.amdhsa_exception_fp_ieee_inexact 0
		.amdhsa_exception_int_div_zero 0
	.end_amdhsa_kernel
	.section	.text._Z33head_segmented_warp_reduce_kernelI6__halfhLj32ELj8EENSt9enable_ifIXsr10test_utilsE35device_test_enabled_for_warp_size_vIXT2_EEEvE4typeEPT_PT0_S5_,"axG",@progbits,_Z33head_segmented_warp_reduce_kernelI6__halfhLj32ELj8EENSt9enable_ifIXsr10test_utilsE35device_test_enabled_for_warp_size_vIXT2_EEEvE4typeEPT_PT0_S5_,comdat
.Lfunc_end162:
	.size	_Z33head_segmented_warp_reduce_kernelI6__halfhLj32ELj8EENSt9enable_ifIXsr10test_utilsE35device_test_enabled_for_warp_size_vIXT2_EEEvE4typeEPT_PT0_S5_, .Lfunc_end162-_Z33head_segmented_warp_reduce_kernelI6__halfhLj32ELj8EENSt9enable_ifIXsr10test_utilsE35device_test_enabled_for_warp_size_vIXT2_EEEvE4typeEPT_PT0_S5_
                                        ; -- End function
	.section	.AMDGPU.csdata,"",@progbits
; Kernel info:
; codeLenInByte = 384
; NumSgprs: 16
; NumVgprs: 13
; NumAgprs: 0
; TotalNumVgprs: 13
; ScratchSize: 0
; MemoryBound: 0
; FloatMode: 240
; IeeeMode: 1
; LDSByteSize: 0 bytes/workgroup (compile time only)
; SGPRBlocks: 1
; VGPRBlocks: 1
; NumSGPRsForWavesPerEU: 16
; NumVGPRsForWavesPerEU: 13
; AccumOffset: 16
; Occupancy: 8
; WaveLimiterHint : 0
; COMPUTE_PGM_RSRC2:SCRATCH_EN: 0
; COMPUTE_PGM_RSRC2:USER_SGPR: 6
; COMPUTE_PGM_RSRC2:TRAP_HANDLER: 0
; COMPUTE_PGM_RSRC2:TGID_X_EN: 1
; COMPUTE_PGM_RSRC2:TGID_Y_EN: 0
; COMPUTE_PGM_RSRC2:TGID_Z_EN: 0
; COMPUTE_PGM_RSRC2:TIDIG_COMP_CNT: 0
; COMPUTE_PGM_RSRC3_GFX90A:ACCUM_OFFSET: 3
; COMPUTE_PGM_RSRC3_GFX90A:TG_SPLIT: 0
	.section	.text._Z33head_segmented_warp_reduce_kernelI6__halfhLj64ELj8EENSt9enable_ifIXsr10test_utilsE35device_test_enabled_for_warp_size_vIXT2_EEEvE4typeEPT_PT0_S5_,"axG",@progbits,_Z33head_segmented_warp_reduce_kernelI6__halfhLj64ELj8EENSt9enable_ifIXsr10test_utilsE35device_test_enabled_for_warp_size_vIXT2_EEEvE4typeEPT_PT0_S5_,comdat
	.protected	_Z33head_segmented_warp_reduce_kernelI6__halfhLj64ELj8EENSt9enable_ifIXsr10test_utilsE35device_test_enabled_for_warp_size_vIXT2_EEEvE4typeEPT_PT0_S5_ ; -- Begin function _Z33head_segmented_warp_reduce_kernelI6__halfhLj64ELj8EENSt9enable_ifIXsr10test_utilsE35device_test_enabled_for_warp_size_vIXT2_EEEvE4typeEPT_PT0_S5_
	.globl	_Z33head_segmented_warp_reduce_kernelI6__halfhLj64ELj8EENSt9enable_ifIXsr10test_utilsE35device_test_enabled_for_warp_size_vIXT2_EEEvE4typeEPT_PT0_S5_
	.p2align	8
	.type	_Z33head_segmented_warp_reduce_kernelI6__halfhLj64ELj8EENSt9enable_ifIXsr10test_utilsE35device_test_enabled_for_warp_size_vIXT2_EEEvE4typeEPT_PT0_S5_,@function
_Z33head_segmented_warp_reduce_kernelI6__halfhLj64ELj8EENSt9enable_ifIXsr10test_utilsE35device_test_enabled_for_warp_size_vIXT2_EEEvE4typeEPT_PT0_S5_: ; @_Z33head_segmented_warp_reduce_kernelI6__halfhLj64ELj8EENSt9enable_ifIXsr10test_utilsE35device_test_enabled_for_warp_size_vIXT2_EEEvE4typeEPT_PT0_S5_
; %bb.0:
	s_load_dword s0, s[4:5], 0x24
	s_load_dwordx4 s[8:11], s[4:5], 0x0
	s_load_dwordx2 s[2:3], s[4:5], 0x10
	v_mov_b32_e32 v1, 0
	s_waitcnt lgkmcnt(0)
	s_and_b32 s0, s0, 0xffff
	s_mul_i32 s6, s6, s0
	v_add_u32_e32 v0, s6, v0
	v_lshlrev_b64 v[2:3], 1, v[0:1]
	v_mov_b32_e32 v1, s9
	global_load_ubyte v4, v0, s[10:11]
	v_add_co_u32_e32 v0, vcc, s8, v2
	v_addc_co_u32_e32 v1, vcc, v1, v3, vcc
	global_load_ushort v5, v[0:1], off
	v_mbcnt_lo_u32_b32 v0, -1, 0
	v_mbcnt_hi_u32_b32 v6, -1, v0
	v_and_b32_e32 v8, 7, v6
	v_cmp_ne_u32_e32 vcc, 7, v8
	v_addc_co_u32_e32 v9, vcc, 0, v6, vcc
	v_cmp_gt_u32_e32 vcc, 6, v8
	v_cndmask_b32_e64 v11, 0, 1, vcc
	v_lshlrev_b64 v[0:1], v6, -1
	v_and_b32_e32 v7, 0x78, v6
	v_lshlrev_b32_e32 v9, 2, v9
	v_lshlrev_b32_e32 v11, 1, v11
	v_add_lshl_u32 v11, v11, v6, 2
	v_add_u32_e32 v10, 2, v8
	v_add_u32_e32 v12, 4, v8
	s_waitcnt vmcnt(1)
	v_cmp_ne_u16_e32 vcc, 0, v4
	s_lshr_b64 s[0:1], vcc, 1
	v_and_b32_e32 v1, s1, v1
	v_and_b32_e32 v0, s0, v0
	v_lshrrev_b64 v[0:1], v7, v[0:1]
	s_waitcnt vmcnt(0)
	v_and_b32_e32 v4, 0xffff, v5
	ds_bpermute_b32 v7, v9, v4
	v_or_b32_e32 v0, 0x80, v0
	v_ffbl_b32_e32 v1, v1
	v_add_u32_e32 v1, 32, v1
	v_ffbl_b32_e32 v0, v0
	v_min_u32_e32 v0, v0, v1
	s_waitcnt lgkmcnt(0)
	v_add_f16_e32 v1, v5, v7
	v_cmp_lt_u32_e32 vcc, v8, v0
	v_cndmask_b32_e32 v4, v4, v1, vcc
	ds_bpermute_b32 v7, v11, v4
	v_cmp_gt_u32_e64 s[0:1], 4, v8
	v_cndmask_b32_e64 v8, 0, 1, s[0:1]
	v_lshlrev_b32_e32 v8, 2, v8
	v_add_lshl_u32 v6, v8, v6, 2
	v_cndmask_b32_e32 v8, v5, v1, vcc
	s_waitcnt lgkmcnt(0)
	v_add_f16_e32 v7, v7, v8
	v_cmp_gt_u32_e64 s[0:1], v10, v0
	v_cndmask_b32_e64 v4, v7, v4, s[0:1]
	ds_bpermute_b32 v4, v6, v4
	v_cndmask_b32_e64 v1, v7, v1, s[0:1]
	v_cndmask_b32_e64 v7, v7, v8, s[0:1]
	v_cndmask_b32_e32 v1, v5, v1, vcc
	v_cmp_gt_u32_e32 vcc, v12, v0
	s_waitcnt lgkmcnt(0)
	v_add_f16_e32 v4, v4, v7
	v_mov_b32_e32 v6, s3
	v_cndmask_b32_e32 v4, v4, v1, vcc
	v_add_co_u32_e32 v0, vcc, s2, v2
	v_addc_co_u32_e32 v1, vcc, v6, v3, vcc
	global_store_short v[0:1], v4, off
	s_endpgm
	.section	.rodata,"a",@progbits
	.p2align	6, 0x0
	.amdhsa_kernel _Z33head_segmented_warp_reduce_kernelI6__halfhLj64ELj8EENSt9enable_ifIXsr10test_utilsE35device_test_enabled_for_warp_size_vIXT2_EEEvE4typeEPT_PT0_S5_
		.amdhsa_group_segment_fixed_size 0
		.amdhsa_private_segment_fixed_size 0
		.amdhsa_kernarg_size 280
		.amdhsa_user_sgpr_count 6
		.amdhsa_user_sgpr_private_segment_buffer 1
		.amdhsa_user_sgpr_dispatch_ptr 0
		.amdhsa_user_sgpr_queue_ptr 0
		.amdhsa_user_sgpr_kernarg_segment_ptr 1
		.amdhsa_user_sgpr_dispatch_id 0
		.amdhsa_user_sgpr_flat_scratch_init 0
		.amdhsa_user_sgpr_kernarg_preload_length 0
		.amdhsa_user_sgpr_kernarg_preload_offset 0
		.amdhsa_user_sgpr_private_segment_size 0
		.amdhsa_uses_dynamic_stack 0
		.amdhsa_system_sgpr_private_segment_wavefront_offset 0
		.amdhsa_system_sgpr_workgroup_id_x 1
		.amdhsa_system_sgpr_workgroup_id_y 0
		.amdhsa_system_sgpr_workgroup_id_z 0
		.amdhsa_system_sgpr_workgroup_info 0
		.amdhsa_system_vgpr_workitem_id 0
		.amdhsa_next_free_vgpr 13
		.amdhsa_next_free_sgpr 12
		.amdhsa_accum_offset 16
		.amdhsa_reserve_vcc 1
		.amdhsa_reserve_flat_scratch 0
		.amdhsa_float_round_mode_32 0
		.amdhsa_float_round_mode_16_64 0
		.amdhsa_float_denorm_mode_32 3
		.amdhsa_float_denorm_mode_16_64 3
		.amdhsa_dx10_clamp 1
		.amdhsa_ieee_mode 1
		.amdhsa_fp16_overflow 0
		.amdhsa_tg_split 0
		.amdhsa_exception_fp_ieee_invalid_op 0
		.amdhsa_exception_fp_denorm_src 0
		.amdhsa_exception_fp_ieee_div_zero 0
		.amdhsa_exception_fp_ieee_overflow 0
		.amdhsa_exception_fp_ieee_underflow 0
		.amdhsa_exception_fp_ieee_inexact 0
		.amdhsa_exception_int_div_zero 0
	.end_amdhsa_kernel
	.section	.text._Z33head_segmented_warp_reduce_kernelI6__halfhLj64ELj8EENSt9enable_ifIXsr10test_utilsE35device_test_enabled_for_warp_size_vIXT2_EEEvE4typeEPT_PT0_S5_,"axG",@progbits,_Z33head_segmented_warp_reduce_kernelI6__halfhLj64ELj8EENSt9enable_ifIXsr10test_utilsE35device_test_enabled_for_warp_size_vIXT2_EEEvE4typeEPT_PT0_S5_,comdat
.Lfunc_end163:
	.size	_Z33head_segmented_warp_reduce_kernelI6__halfhLj64ELj8EENSt9enable_ifIXsr10test_utilsE35device_test_enabled_for_warp_size_vIXT2_EEEvE4typeEPT_PT0_S5_, .Lfunc_end163-_Z33head_segmented_warp_reduce_kernelI6__halfhLj64ELj8EENSt9enable_ifIXsr10test_utilsE35device_test_enabled_for_warp_size_vIXT2_EEEvE4typeEPT_PT0_S5_
                                        ; -- End function
	.section	.AMDGPU.csdata,"",@progbits
; Kernel info:
; codeLenInByte = 384
; NumSgprs: 16
; NumVgprs: 13
; NumAgprs: 0
; TotalNumVgprs: 13
; ScratchSize: 0
; MemoryBound: 0
; FloatMode: 240
; IeeeMode: 1
; LDSByteSize: 0 bytes/workgroup (compile time only)
; SGPRBlocks: 1
; VGPRBlocks: 1
; NumSGPRsForWavesPerEU: 16
; NumVGPRsForWavesPerEU: 13
; AccumOffset: 16
; Occupancy: 8
; WaveLimiterHint : 0
; COMPUTE_PGM_RSRC2:SCRATCH_EN: 0
; COMPUTE_PGM_RSRC2:USER_SGPR: 6
; COMPUTE_PGM_RSRC2:TRAP_HANDLER: 0
; COMPUTE_PGM_RSRC2:TGID_X_EN: 1
; COMPUTE_PGM_RSRC2:TGID_Y_EN: 0
; COMPUTE_PGM_RSRC2:TGID_Z_EN: 0
; COMPUTE_PGM_RSRC2:TIDIG_COMP_CNT: 0
; COMPUTE_PGM_RSRC3_GFX90A:ACCUM_OFFSET: 3
; COMPUTE_PGM_RSRC3_GFX90A:TG_SPLIT: 0
	.section	.text._Z33head_segmented_warp_reduce_kernelI6__halfhLj32ELj4EENSt9enable_ifIXsr10test_utilsE35device_test_enabled_for_warp_size_vIXT2_EEEvE4typeEPT_PT0_S5_,"axG",@progbits,_Z33head_segmented_warp_reduce_kernelI6__halfhLj32ELj4EENSt9enable_ifIXsr10test_utilsE35device_test_enabled_for_warp_size_vIXT2_EEEvE4typeEPT_PT0_S5_,comdat
	.protected	_Z33head_segmented_warp_reduce_kernelI6__halfhLj32ELj4EENSt9enable_ifIXsr10test_utilsE35device_test_enabled_for_warp_size_vIXT2_EEEvE4typeEPT_PT0_S5_ ; -- Begin function _Z33head_segmented_warp_reduce_kernelI6__halfhLj32ELj4EENSt9enable_ifIXsr10test_utilsE35device_test_enabled_for_warp_size_vIXT2_EEEvE4typeEPT_PT0_S5_
	.globl	_Z33head_segmented_warp_reduce_kernelI6__halfhLj32ELj4EENSt9enable_ifIXsr10test_utilsE35device_test_enabled_for_warp_size_vIXT2_EEEvE4typeEPT_PT0_S5_
	.p2align	8
	.type	_Z33head_segmented_warp_reduce_kernelI6__halfhLj32ELj4EENSt9enable_ifIXsr10test_utilsE35device_test_enabled_for_warp_size_vIXT2_EEEvE4typeEPT_PT0_S5_,@function
_Z33head_segmented_warp_reduce_kernelI6__halfhLj32ELj4EENSt9enable_ifIXsr10test_utilsE35device_test_enabled_for_warp_size_vIXT2_EEEvE4typeEPT_PT0_S5_: ; @_Z33head_segmented_warp_reduce_kernelI6__halfhLj32ELj4EENSt9enable_ifIXsr10test_utilsE35device_test_enabled_for_warp_size_vIXT2_EEEvE4typeEPT_PT0_S5_
; %bb.0:
	s_load_dword s7, s[4:5], 0x24
	s_load_dwordx4 s[0:3], s[4:5], 0x0
	s_load_dwordx2 s[8:9], s[4:5], 0x10
	v_mov_b32_e32 v1, 0
	s_waitcnt lgkmcnt(0)
	s_and_b32 s4, s7, 0xffff
	s_mul_i32 s6, s6, s4
	v_add_u32_e32 v0, s6, v0
	v_lshlrev_b64 v[2:3], 1, v[0:1]
	v_mov_b32_e32 v1, s1
	global_load_ubyte v4, v0, s[2:3]
	v_add_co_u32_e32 v0, vcc, s0, v2
	v_addc_co_u32_e32 v1, vcc, v1, v3, vcc
	global_load_ushort v5, v[0:1], off
	v_mbcnt_lo_u32_b32 v0, -1, 0
	v_mbcnt_hi_u32_b32 v6, -1, v0
	v_and_b32_e32 v8, 3, v6
	v_cmp_ne_u32_e32 vcc, 3, v8
	v_addc_co_u32_e32 v9, vcc, 0, v6, vcc
	v_cmp_gt_u32_e32 vcc, 2, v8
	v_cndmask_b32_e64 v10, 0, 1, vcc
	v_lshlrev_b64 v[0:1], v6, -1
	v_and_b32_e32 v7, 0x7c, v6
	v_lshlrev_b32_e32 v9, 2, v9
	v_lshlrev_b32_e32 v10, 1, v10
	v_add_lshl_u32 v6, v10, v6, 2
	s_waitcnt vmcnt(1)
	v_cmp_ne_u16_e32 vcc, 0, v4
	s_lshr_b64 s[0:1], vcc, 1
	v_and_b32_e32 v1, s1, v1
	v_and_b32_e32 v0, s0, v0
	v_lshrrev_b64 v[0:1], v7, v[0:1]
	s_waitcnt vmcnt(0)
	v_and_b32_e32 v4, 0xffff, v5
	ds_bpermute_b32 v7, v9, v4
	v_or_b32_e32 v0, 8, v0
	v_ffbl_b32_e32 v1, v1
	v_add_u32_e32 v1, 32, v1
	v_ffbl_b32_e32 v0, v0
	v_min_u32_e32 v0, v0, v1
	s_waitcnt lgkmcnt(0)
	v_add_f16_e32 v1, v5, v7
	v_cmp_lt_u32_e32 vcc, v8, v0
	v_cndmask_b32_e32 v4, v4, v1, vcc
	ds_bpermute_b32 v4, v6, v4
	v_add_u32_e32 v6, 2, v8
	v_cmp_gt_u32_e64 s[0:1], v6, v0
	v_mov_b32_e32 v7, s9
	s_waitcnt lgkmcnt(0)
	v_add_f16_e32 v4, v1, v4
	v_cndmask_b32_e64 v0, v4, v1, s[0:1]
	v_cndmask_b32_e32 v4, v5, v0, vcc
	v_add_co_u32_e32 v0, vcc, s8, v2
	v_addc_co_u32_e32 v1, vcc, v7, v3, vcc
	global_store_short v[0:1], v4, off
	s_endpgm
	.section	.rodata,"a",@progbits
	.p2align	6, 0x0
	.amdhsa_kernel _Z33head_segmented_warp_reduce_kernelI6__halfhLj32ELj4EENSt9enable_ifIXsr10test_utilsE35device_test_enabled_for_warp_size_vIXT2_EEEvE4typeEPT_PT0_S5_
		.amdhsa_group_segment_fixed_size 0
		.amdhsa_private_segment_fixed_size 0
		.amdhsa_kernarg_size 280
		.amdhsa_user_sgpr_count 6
		.amdhsa_user_sgpr_private_segment_buffer 1
		.amdhsa_user_sgpr_dispatch_ptr 0
		.amdhsa_user_sgpr_queue_ptr 0
		.amdhsa_user_sgpr_kernarg_segment_ptr 1
		.amdhsa_user_sgpr_dispatch_id 0
		.amdhsa_user_sgpr_flat_scratch_init 0
		.amdhsa_user_sgpr_kernarg_preload_length 0
		.amdhsa_user_sgpr_kernarg_preload_offset 0
		.amdhsa_user_sgpr_private_segment_size 0
		.amdhsa_uses_dynamic_stack 0
		.amdhsa_system_sgpr_private_segment_wavefront_offset 0
		.amdhsa_system_sgpr_workgroup_id_x 1
		.amdhsa_system_sgpr_workgroup_id_y 0
		.amdhsa_system_sgpr_workgroup_id_z 0
		.amdhsa_system_sgpr_workgroup_info 0
		.amdhsa_system_vgpr_workitem_id 0
		.amdhsa_next_free_vgpr 11
		.amdhsa_next_free_sgpr 10
		.amdhsa_accum_offset 12
		.amdhsa_reserve_vcc 1
		.amdhsa_reserve_flat_scratch 0
		.amdhsa_float_round_mode_32 0
		.amdhsa_float_round_mode_16_64 0
		.amdhsa_float_denorm_mode_32 3
		.amdhsa_float_denorm_mode_16_64 3
		.amdhsa_dx10_clamp 1
		.amdhsa_ieee_mode 1
		.amdhsa_fp16_overflow 0
		.amdhsa_tg_split 0
		.amdhsa_exception_fp_ieee_invalid_op 0
		.amdhsa_exception_fp_denorm_src 0
		.amdhsa_exception_fp_ieee_div_zero 0
		.amdhsa_exception_fp_ieee_overflow 0
		.amdhsa_exception_fp_ieee_underflow 0
		.amdhsa_exception_fp_ieee_inexact 0
		.amdhsa_exception_int_div_zero 0
	.end_amdhsa_kernel
	.section	.text._Z33head_segmented_warp_reduce_kernelI6__halfhLj32ELj4EENSt9enable_ifIXsr10test_utilsE35device_test_enabled_for_warp_size_vIXT2_EEEvE4typeEPT_PT0_S5_,"axG",@progbits,_Z33head_segmented_warp_reduce_kernelI6__halfhLj32ELj4EENSt9enable_ifIXsr10test_utilsE35device_test_enabled_for_warp_size_vIXT2_EEEvE4typeEPT_PT0_S5_,comdat
.Lfunc_end164:
	.size	_Z33head_segmented_warp_reduce_kernelI6__halfhLj32ELj4EENSt9enable_ifIXsr10test_utilsE35device_test_enabled_for_warp_size_vIXT2_EEEvE4typeEPT_PT0_S5_, .Lfunc_end164-_Z33head_segmented_warp_reduce_kernelI6__halfhLj32ELj4EENSt9enable_ifIXsr10test_utilsE35device_test_enabled_for_warp_size_vIXT2_EEEvE4typeEPT_PT0_S5_
                                        ; -- End function
	.section	.AMDGPU.csdata,"",@progbits
; Kernel info:
; codeLenInByte = 304
; NumSgprs: 14
; NumVgprs: 11
; NumAgprs: 0
; TotalNumVgprs: 11
; ScratchSize: 0
; MemoryBound: 0
; FloatMode: 240
; IeeeMode: 1
; LDSByteSize: 0 bytes/workgroup (compile time only)
; SGPRBlocks: 1
; VGPRBlocks: 1
; NumSGPRsForWavesPerEU: 14
; NumVGPRsForWavesPerEU: 11
; AccumOffset: 12
; Occupancy: 8
; WaveLimiterHint : 0
; COMPUTE_PGM_RSRC2:SCRATCH_EN: 0
; COMPUTE_PGM_RSRC2:USER_SGPR: 6
; COMPUTE_PGM_RSRC2:TRAP_HANDLER: 0
; COMPUTE_PGM_RSRC2:TGID_X_EN: 1
; COMPUTE_PGM_RSRC2:TGID_Y_EN: 0
; COMPUTE_PGM_RSRC2:TGID_Z_EN: 0
; COMPUTE_PGM_RSRC2:TIDIG_COMP_CNT: 0
; COMPUTE_PGM_RSRC3_GFX90A:ACCUM_OFFSET: 2
; COMPUTE_PGM_RSRC3_GFX90A:TG_SPLIT: 0
	.section	.text._Z33head_segmented_warp_reduce_kernelI6__halfhLj64ELj4EENSt9enable_ifIXsr10test_utilsE35device_test_enabled_for_warp_size_vIXT2_EEEvE4typeEPT_PT0_S5_,"axG",@progbits,_Z33head_segmented_warp_reduce_kernelI6__halfhLj64ELj4EENSt9enable_ifIXsr10test_utilsE35device_test_enabled_for_warp_size_vIXT2_EEEvE4typeEPT_PT0_S5_,comdat
	.protected	_Z33head_segmented_warp_reduce_kernelI6__halfhLj64ELj4EENSt9enable_ifIXsr10test_utilsE35device_test_enabled_for_warp_size_vIXT2_EEEvE4typeEPT_PT0_S5_ ; -- Begin function _Z33head_segmented_warp_reduce_kernelI6__halfhLj64ELj4EENSt9enable_ifIXsr10test_utilsE35device_test_enabled_for_warp_size_vIXT2_EEEvE4typeEPT_PT0_S5_
	.globl	_Z33head_segmented_warp_reduce_kernelI6__halfhLj64ELj4EENSt9enable_ifIXsr10test_utilsE35device_test_enabled_for_warp_size_vIXT2_EEEvE4typeEPT_PT0_S5_
	.p2align	8
	.type	_Z33head_segmented_warp_reduce_kernelI6__halfhLj64ELj4EENSt9enable_ifIXsr10test_utilsE35device_test_enabled_for_warp_size_vIXT2_EEEvE4typeEPT_PT0_S5_,@function
_Z33head_segmented_warp_reduce_kernelI6__halfhLj64ELj4EENSt9enable_ifIXsr10test_utilsE35device_test_enabled_for_warp_size_vIXT2_EEEvE4typeEPT_PT0_S5_: ; @_Z33head_segmented_warp_reduce_kernelI6__halfhLj64ELj4EENSt9enable_ifIXsr10test_utilsE35device_test_enabled_for_warp_size_vIXT2_EEEvE4typeEPT_PT0_S5_
; %bb.0:
	s_load_dword s7, s[4:5], 0x24
	s_load_dwordx4 s[0:3], s[4:5], 0x0
	s_load_dwordx2 s[8:9], s[4:5], 0x10
	v_mov_b32_e32 v1, 0
	s_waitcnt lgkmcnt(0)
	s_and_b32 s4, s7, 0xffff
	s_mul_i32 s6, s6, s4
	v_add_u32_e32 v0, s6, v0
	v_lshlrev_b64 v[2:3], 1, v[0:1]
	v_mov_b32_e32 v1, s1
	global_load_ubyte v4, v0, s[2:3]
	v_add_co_u32_e32 v0, vcc, s0, v2
	v_addc_co_u32_e32 v1, vcc, v1, v3, vcc
	global_load_ushort v5, v[0:1], off
	v_mbcnt_lo_u32_b32 v0, -1, 0
	v_mbcnt_hi_u32_b32 v6, -1, v0
	v_and_b32_e32 v8, 3, v6
	v_cmp_ne_u32_e32 vcc, 3, v8
	v_addc_co_u32_e32 v9, vcc, 0, v6, vcc
	v_cmp_gt_u32_e32 vcc, 2, v8
	v_cndmask_b32_e64 v10, 0, 1, vcc
	v_lshlrev_b64 v[0:1], v6, -1
	v_and_b32_e32 v7, 0x7c, v6
	v_lshlrev_b32_e32 v9, 2, v9
	v_lshlrev_b32_e32 v10, 1, v10
	v_add_lshl_u32 v6, v10, v6, 2
	s_waitcnt vmcnt(1)
	v_cmp_ne_u16_e32 vcc, 0, v4
	s_lshr_b64 s[0:1], vcc, 1
	v_and_b32_e32 v1, s1, v1
	v_and_b32_e32 v0, s0, v0
	v_lshrrev_b64 v[0:1], v7, v[0:1]
	s_waitcnt vmcnt(0)
	v_and_b32_e32 v4, 0xffff, v5
	ds_bpermute_b32 v7, v9, v4
	v_or_b32_e32 v0, 8, v0
	v_ffbl_b32_e32 v1, v1
	v_add_u32_e32 v1, 32, v1
	v_ffbl_b32_e32 v0, v0
	v_min_u32_e32 v0, v0, v1
	s_waitcnt lgkmcnt(0)
	v_add_f16_e32 v1, v5, v7
	v_cmp_lt_u32_e32 vcc, v8, v0
	v_cndmask_b32_e32 v4, v4, v1, vcc
	ds_bpermute_b32 v4, v6, v4
	v_add_u32_e32 v6, 2, v8
	v_cmp_gt_u32_e64 s[0:1], v6, v0
	v_mov_b32_e32 v7, s9
	s_waitcnt lgkmcnt(0)
	v_add_f16_e32 v4, v1, v4
	v_cndmask_b32_e64 v0, v4, v1, s[0:1]
	v_cndmask_b32_e32 v4, v5, v0, vcc
	v_add_co_u32_e32 v0, vcc, s8, v2
	v_addc_co_u32_e32 v1, vcc, v7, v3, vcc
	global_store_short v[0:1], v4, off
	s_endpgm
	.section	.rodata,"a",@progbits
	.p2align	6, 0x0
	.amdhsa_kernel _Z33head_segmented_warp_reduce_kernelI6__halfhLj64ELj4EENSt9enable_ifIXsr10test_utilsE35device_test_enabled_for_warp_size_vIXT2_EEEvE4typeEPT_PT0_S5_
		.amdhsa_group_segment_fixed_size 0
		.amdhsa_private_segment_fixed_size 0
		.amdhsa_kernarg_size 280
		.amdhsa_user_sgpr_count 6
		.amdhsa_user_sgpr_private_segment_buffer 1
		.amdhsa_user_sgpr_dispatch_ptr 0
		.amdhsa_user_sgpr_queue_ptr 0
		.amdhsa_user_sgpr_kernarg_segment_ptr 1
		.amdhsa_user_sgpr_dispatch_id 0
		.amdhsa_user_sgpr_flat_scratch_init 0
		.amdhsa_user_sgpr_kernarg_preload_length 0
		.amdhsa_user_sgpr_kernarg_preload_offset 0
		.amdhsa_user_sgpr_private_segment_size 0
		.amdhsa_uses_dynamic_stack 0
		.amdhsa_system_sgpr_private_segment_wavefront_offset 0
		.amdhsa_system_sgpr_workgroup_id_x 1
		.amdhsa_system_sgpr_workgroup_id_y 0
		.amdhsa_system_sgpr_workgroup_id_z 0
		.amdhsa_system_sgpr_workgroup_info 0
		.amdhsa_system_vgpr_workitem_id 0
		.amdhsa_next_free_vgpr 11
		.amdhsa_next_free_sgpr 10
		.amdhsa_accum_offset 12
		.amdhsa_reserve_vcc 1
		.amdhsa_reserve_flat_scratch 0
		.amdhsa_float_round_mode_32 0
		.amdhsa_float_round_mode_16_64 0
		.amdhsa_float_denorm_mode_32 3
		.amdhsa_float_denorm_mode_16_64 3
		.amdhsa_dx10_clamp 1
		.amdhsa_ieee_mode 1
		.amdhsa_fp16_overflow 0
		.amdhsa_tg_split 0
		.amdhsa_exception_fp_ieee_invalid_op 0
		.amdhsa_exception_fp_denorm_src 0
		.amdhsa_exception_fp_ieee_div_zero 0
		.amdhsa_exception_fp_ieee_overflow 0
		.amdhsa_exception_fp_ieee_underflow 0
		.amdhsa_exception_fp_ieee_inexact 0
		.amdhsa_exception_int_div_zero 0
	.end_amdhsa_kernel
	.section	.text._Z33head_segmented_warp_reduce_kernelI6__halfhLj64ELj4EENSt9enable_ifIXsr10test_utilsE35device_test_enabled_for_warp_size_vIXT2_EEEvE4typeEPT_PT0_S5_,"axG",@progbits,_Z33head_segmented_warp_reduce_kernelI6__halfhLj64ELj4EENSt9enable_ifIXsr10test_utilsE35device_test_enabled_for_warp_size_vIXT2_EEEvE4typeEPT_PT0_S5_,comdat
.Lfunc_end165:
	.size	_Z33head_segmented_warp_reduce_kernelI6__halfhLj64ELj4EENSt9enable_ifIXsr10test_utilsE35device_test_enabled_for_warp_size_vIXT2_EEEvE4typeEPT_PT0_S5_, .Lfunc_end165-_Z33head_segmented_warp_reduce_kernelI6__halfhLj64ELj4EENSt9enable_ifIXsr10test_utilsE35device_test_enabled_for_warp_size_vIXT2_EEEvE4typeEPT_PT0_S5_
                                        ; -- End function
	.section	.AMDGPU.csdata,"",@progbits
; Kernel info:
; codeLenInByte = 304
; NumSgprs: 14
; NumVgprs: 11
; NumAgprs: 0
; TotalNumVgprs: 11
; ScratchSize: 0
; MemoryBound: 0
; FloatMode: 240
; IeeeMode: 1
; LDSByteSize: 0 bytes/workgroup (compile time only)
; SGPRBlocks: 1
; VGPRBlocks: 1
; NumSGPRsForWavesPerEU: 14
; NumVGPRsForWavesPerEU: 11
; AccumOffset: 12
; Occupancy: 8
; WaveLimiterHint : 0
; COMPUTE_PGM_RSRC2:SCRATCH_EN: 0
; COMPUTE_PGM_RSRC2:USER_SGPR: 6
; COMPUTE_PGM_RSRC2:TRAP_HANDLER: 0
; COMPUTE_PGM_RSRC2:TGID_X_EN: 1
; COMPUTE_PGM_RSRC2:TGID_Y_EN: 0
; COMPUTE_PGM_RSRC2:TGID_Z_EN: 0
; COMPUTE_PGM_RSRC2:TIDIG_COMP_CNT: 0
; COMPUTE_PGM_RSRC3_GFX90A:ACCUM_OFFSET: 2
; COMPUTE_PGM_RSRC3_GFX90A:TG_SPLIT: 0
	.section	.text._Z33head_segmented_warp_reduce_kernelI6__halfhLj32ELj2EENSt9enable_ifIXsr10test_utilsE35device_test_enabled_for_warp_size_vIXT2_EEEvE4typeEPT_PT0_S5_,"axG",@progbits,_Z33head_segmented_warp_reduce_kernelI6__halfhLj32ELj2EENSt9enable_ifIXsr10test_utilsE35device_test_enabled_for_warp_size_vIXT2_EEEvE4typeEPT_PT0_S5_,comdat
	.protected	_Z33head_segmented_warp_reduce_kernelI6__halfhLj32ELj2EENSt9enable_ifIXsr10test_utilsE35device_test_enabled_for_warp_size_vIXT2_EEEvE4typeEPT_PT0_S5_ ; -- Begin function _Z33head_segmented_warp_reduce_kernelI6__halfhLj32ELj2EENSt9enable_ifIXsr10test_utilsE35device_test_enabled_for_warp_size_vIXT2_EEEvE4typeEPT_PT0_S5_
	.globl	_Z33head_segmented_warp_reduce_kernelI6__halfhLj32ELj2EENSt9enable_ifIXsr10test_utilsE35device_test_enabled_for_warp_size_vIXT2_EEEvE4typeEPT_PT0_S5_
	.p2align	8
	.type	_Z33head_segmented_warp_reduce_kernelI6__halfhLj32ELj2EENSt9enable_ifIXsr10test_utilsE35device_test_enabled_for_warp_size_vIXT2_EEEvE4typeEPT_PT0_S5_,@function
_Z33head_segmented_warp_reduce_kernelI6__halfhLj32ELj2EENSt9enable_ifIXsr10test_utilsE35device_test_enabled_for_warp_size_vIXT2_EEEvE4typeEPT_PT0_S5_: ; @_Z33head_segmented_warp_reduce_kernelI6__halfhLj32ELj2EENSt9enable_ifIXsr10test_utilsE35device_test_enabled_for_warp_size_vIXT2_EEEvE4typeEPT_PT0_S5_
; %bb.0:
	s_load_dword s7, s[4:5], 0x24
	s_load_dwordx4 s[0:3], s[4:5], 0x0
	s_load_dwordx2 s[8:9], s[4:5], 0x10
	v_mov_b32_e32 v1, 0
	s_waitcnt lgkmcnt(0)
	s_and_b32 s4, s7, 0xffff
	s_mul_i32 s6, s6, s4
	v_add_u32_e32 v0, s6, v0
	v_lshlrev_b64 v[2:3], 1, v[0:1]
	v_mov_b32_e32 v1, s1
	global_load_ubyte v4, v0, s[2:3]
	v_add_co_u32_e32 v0, vcc, s0, v2
	v_addc_co_u32_e32 v1, vcc, v1, v3, vcc
	global_load_ushort v5, v[0:1], off
	v_mbcnt_lo_u32_b32 v0, -1, 0
	v_mbcnt_hi_u32_b32 v6, -1, v0
	v_lshlrev_b64 v[0:1], v6, -1
	v_and_b32_e32 v7, 0x7e, v6
	v_and_b32_e32 v8, 1, v6
	v_lshl_or_b32 v6, v6, 2, 4
	v_mov_b32_e32 v9, s9
	s_waitcnt vmcnt(1)
	v_cmp_ne_u16_e32 vcc, 0, v4
	s_lshr_b64 s[0:1], vcc, 1
	v_and_b32_e32 v1, s1, v1
	v_and_b32_e32 v0, s0, v0
	v_lshrrev_b64 v[0:1], v7, v[0:1]
	s_waitcnt vmcnt(0)
	v_and_b32_e32 v4, 0xffff, v5
	ds_bpermute_b32 v4, v6, v4
	v_or_b32_e32 v0, 2, v0
	v_ffbl_b32_e32 v1, v1
	v_add_u32_e32 v1, 32, v1
	v_ffbl_b32_e32 v0, v0
	v_min_u32_e32 v0, v0, v1
	s_waitcnt lgkmcnt(0)
	v_add_f16_e32 v1, v5, v4
	v_cmp_lt_u32_e32 vcc, v8, v0
	v_cndmask_b32_e32 v4, v5, v1, vcc
	v_add_co_u32_e32 v0, vcc, s8, v2
	v_addc_co_u32_e32 v1, vcc, v9, v3, vcc
	global_store_short v[0:1], v4, off
	s_endpgm
	.section	.rodata,"a",@progbits
	.p2align	6, 0x0
	.amdhsa_kernel _Z33head_segmented_warp_reduce_kernelI6__halfhLj32ELj2EENSt9enable_ifIXsr10test_utilsE35device_test_enabled_for_warp_size_vIXT2_EEEvE4typeEPT_PT0_S5_
		.amdhsa_group_segment_fixed_size 0
		.amdhsa_private_segment_fixed_size 0
		.amdhsa_kernarg_size 280
		.amdhsa_user_sgpr_count 6
		.amdhsa_user_sgpr_private_segment_buffer 1
		.amdhsa_user_sgpr_dispatch_ptr 0
		.amdhsa_user_sgpr_queue_ptr 0
		.amdhsa_user_sgpr_kernarg_segment_ptr 1
		.amdhsa_user_sgpr_dispatch_id 0
		.amdhsa_user_sgpr_flat_scratch_init 0
		.amdhsa_user_sgpr_kernarg_preload_length 0
		.amdhsa_user_sgpr_kernarg_preload_offset 0
		.amdhsa_user_sgpr_private_segment_size 0
		.amdhsa_uses_dynamic_stack 0
		.amdhsa_system_sgpr_private_segment_wavefront_offset 0
		.amdhsa_system_sgpr_workgroup_id_x 1
		.amdhsa_system_sgpr_workgroup_id_y 0
		.amdhsa_system_sgpr_workgroup_id_z 0
		.amdhsa_system_sgpr_workgroup_info 0
		.amdhsa_system_vgpr_workitem_id 0
		.amdhsa_next_free_vgpr 10
		.amdhsa_next_free_sgpr 10
		.amdhsa_accum_offset 12
		.amdhsa_reserve_vcc 1
		.amdhsa_reserve_flat_scratch 0
		.amdhsa_float_round_mode_32 0
		.amdhsa_float_round_mode_16_64 0
		.amdhsa_float_denorm_mode_32 3
		.amdhsa_float_denorm_mode_16_64 3
		.amdhsa_dx10_clamp 1
		.amdhsa_ieee_mode 1
		.amdhsa_fp16_overflow 0
		.amdhsa_tg_split 0
		.amdhsa_exception_fp_ieee_invalid_op 0
		.amdhsa_exception_fp_denorm_src 0
		.amdhsa_exception_fp_ieee_div_zero 0
		.amdhsa_exception_fp_ieee_overflow 0
		.amdhsa_exception_fp_ieee_underflow 0
		.amdhsa_exception_fp_ieee_inexact 0
		.amdhsa_exception_int_div_zero 0
	.end_amdhsa_kernel
	.section	.text._Z33head_segmented_warp_reduce_kernelI6__halfhLj32ELj2EENSt9enable_ifIXsr10test_utilsE35device_test_enabled_for_warp_size_vIXT2_EEEvE4typeEPT_PT0_S5_,"axG",@progbits,_Z33head_segmented_warp_reduce_kernelI6__halfhLj32ELj2EENSt9enable_ifIXsr10test_utilsE35device_test_enabled_for_warp_size_vIXT2_EEEvE4typeEPT_PT0_S5_,comdat
.Lfunc_end166:
	.size	_Z33head_segmented_warp_reduce_kernelI6__halfhLj32ELj2EENSt9enable_ifIXsr10test_utilsE35device_test_enabled_for_warp_size_vIXT2_EEEvE4typeEPT_PT0_S5_, .Lfunc_end166-_Z33head_segmented_warp_reduce_kernelI6__halfhLj32ELj2EENSt9enable_ifIXsr10test_utilsE35device_test_enabled_for_warp_size_vIXT2_EEEvE4typeEPT_PT0_S5_
                                        ; -- End function
	.section	.AMDGPU.csdata,"",@progbits
; Kernel info:
; codeLenInByte = 236
; NumSgprs: 14
; NumVgprs: 10
; NumAgprs: 0
; TotalNumVgprs: 10
; ScratchSize: 0
; MemoryBound: 0
; FloatMode: 240
; IeeeMode: 1
; LDSByteSize: 0 bytes/workgroup (compile time only)
; SGPRBlocks: 1
; VGPRBlocks: 1
; NumSGPRsForWavesPerEU: 14
; NumVGPRsForWavesPerEU: 10
; AccumOffset: 12
; Occupancy: 8
; WaveLimiterHint : 0
; COMPUTE_PGM_RSRC2:SCRATCH_EN: 0
; COMPUTE_PGM_RSRC2:USER_SGPR: 6
; COMPUTE_PGM_RSRC2:TRAP_HANDLER: 0
; COMPUTE_PGM_RSRC2:TGID_X_EN: 1
; COMPUTE_PGM_RSRC2:TGID_Y_EN: 0
; COMPUTE_PGM_RSRC2:TGID_Z_EN: 0
; COMPUTE_PGM_RSRC2:TIDIG_COMP_CNT: 0
; COMPUTE_PGM_RSRC3_GFX90A:ACCUM_OFFSET: 2
; COMPUTE_PGM_RSRC3_GFX90A:TG_SPLIT: 0
	.section	.text._Z33head_segmented_warp_reduce_kernelI6__halfhLj64ELj2EENSt9enable_ifIXsr10test_utilsE35device_test_enabled_for_warp_size_vIXT2_EEEvE4typeEPT_PT0_S5_,"axG",@progbits,_Z33head_segmented_warp_reduce_kernelI6__halfhLj64ELj2EENSt9enable_ifIXsr10test_utilsE35device_test_enabled_for_warp_size_vIXT2_EEEvE4typeEPT_PT0_S5_,comdat
	.protected	_Z33head_segmented_warp_reduce_kernelI6__halfhLj64ELj2EENSt9enable_ifIXsr10test_utilsE35device_test_enabled_for_warp_size_vIXT2_EEEvE4typeEPT_PT0_S5_ ; -- Begin function _Z33head_segmented_warp_reduce_kernelI6__halfhLj64ELj2EENSt9enable_ifIXsr10test_utilsE35device_test_enabled_for_warp_size_vIXT2_EEEvE4typeEPT_PT0_S5_
	.globl	_Z33head_segmented_warp_reduce_kernelI6__halfhLj64ELj2EENSt9enable_ifIXsr10test_utilsE35device_test_enabled_for_warp_size_vIXT2_EEEvE4typeEPT_PT0_S5_
	.p2align	8
	.type	_Z33head_segmented_warp_reduce_kernelI6__halfhLj64ELj2EENSt9enable_ifIXsr10test_utilsE35device_test_enabled_for_warp_size_vIXT2_EEEvE4typeEPT_PT0_S5_,@function
_Z33head_segmented_warp_reduce_kernelI6__halfhLj64ELj2EENSt9enable_ifIXsr10test_utilsE35device_test_enabled_for_warp_size_vIXT2_EEEvE4typeEPT_PT0_S5_: ; @_Z33head_segmented_warp_reduce_kernelI6__halfhLj64ELj2EENSt9enable_ifIXsr10test_utilsE35device_test_enabled_for_warp_size_vIXT2_EEEvE4typeEPT_PT0_S5_
; %bb.0:
	s_load_dword s7, s[4:5], 0x24
	s_load_dwordx4 s[0:3], s[4:5], 0x0
	s_load_dwordx2 s[8:9], s[4:5], 0x10
	v_mov_b32_e32 v1, 0
	s_waitcnt lgkmcnt(0)
	s_and_b32 s4, s7, 0xffff
	s_mul_i32 s6, s6, s4
	v_add_u32_e32 v0, s6, v0
	v_lshlrev_b64 v[2:3], 1, v[0:1]
	v_mov_b32_e32 v1, s1
	global_load_ubyte v4, v0, s[2:3]
	v_add_co_u32_e32 v0, vcc, s0, v2
	v_addc_co_u32_e32 v1, vcc, v1, v3, vcc
	global_load_ushort v5, v[0:1], off
	v_mbcnt_lo_u32_b32 v0, -1, 0
	v_mbcnt_hi_u32_b32 v6, -1, v0
	v_lshlrev_b64 v[0:1], v6, -1
	v_and_b32_e32 v7, 0x7e, v6
	v_and_b32_e32 v8, 1, v6
	v_lshl_or_b32 v6, v6, 2, 4
	v_mov_b32_e32 v9, s9
	s_waitcnt vmcnt(1)
	v_cmp_ne_u16_e32 vcc, 0, v4
	s_lshr_b64 s[0:1], vcc, 1
	v_and_b32_e32 v1, s1, v1
	v_and_b32_e32 v0, s0, v0
	v_lshrrev_b64 v[0:1], v7, v[0:1]
	s_waitcnt vmcnt(0)
	v_and_b32_e32 v4, 0xffff, v5
	ds_bpermute_b32 v4, v6, v4
	v_or_b32_e32 v0, 2, v0
	v_ffbl_b32_e32 v1, v1
	v_add_u32_e32 v1, 32, v1
	v_ffbl_b32_e32 v0, v0
	v_min_u32_e32 v0, v0, v1
	s_waitcnt lgkmcnt(0)
	v_add_f16_e32 v1, v5, v4
	v_cmp_lt_u32_e32 vcc, v8, v0
	v_cndmask_b32_e32 v4, v5, v1, vcc
	v_add_co_u32_e32 v0, vcc, s8, v2
	v_addc_co_u32_e32 v1, vcc, v9, v3, vcc
	global_store_short v[0:1], v4, off
	s_endpgm
	.section	.rodata,"a",@progbits
	.p2align	6, 0x0
	.amdhsa_kernel _Z33head_segmented_warp_reduce_kernelI6__halfhLj64ELj2EENSt9enable_ifIXsr10test_utilsE35device_test_enabled_for_warp_size_vIXT2_EEEvE4typeEPT_PT0_S5_
		.amdhsa_group_segment_fixed_size 0
		.amdhsa_private_segment_fixed_size 0
		.amdhsa_kernarg_size 280
		.amdhsa_user_sgpr_count 6
		.amdhsa_user_sgpr_private_segment_buffer 1
		.amdhsa_user_sgpr_dispatch_ptr 0
		.amdhsa_user_sgpr_queue_ptr 0
		.amdhsa_user_sgpr_kernarg_segment_ptr 1
		.amdhsa_user_sgpr_dispatch_id 0
		.amdhsa_user_sgpr_flat_scratch_init 0
		.amdhsa_user_sgpr_kernarg_preload_length 0
		.amdhsa_user_sgpr_kernarg_preload_offset 0
		.amdhsa_user_sgpr_private_segment_size 0
		.amdhsa_uses_dynamic_stack 0
		.amdhsa_system_sgpr_private_segment_wavefront_offset 0
		.amdhsa_system_sgpr_workgroup_id_x 1
		.amdhsa_system_sgpr_workgroup_id_y 0
		.amdhsa_system_sgpr_workgroup_id_z 0
		.amdhsa_system_sgpr_workgroup_info 0
		.amdhsa_system_vgpr_workitem_id 0
		.amdhsa_next_free_vgpr 10
		.amdhsa_next_free_sgpr 10
		.amdhsa_accum_offset 12
		.amdhsa_reserve_vcc 1
		.amdhsa_reserve_flat_scratch 0
		.amdhsa_float_round_mode_32 0
		.amdhsa_float_round_mode_16_64 0
		.amdhsa_float_denorm_mode_32 3
		.amdhsa_float_denorm_mode_16_64 3
		.amdhsa_dx10_clamp 1
		.amdhsa_ieee_mode 1
		.amdhsa_fp16_overflow 0
		.amdhsa_tg_split 0
		.amdhsa_exception_fp_ieee_invalid_op 0
		.amdhsa_exception_fp_denorm_src 0
		.amdhsa_exception_fp_ieee_div_zero 0
		.amdhsa_exception_fp_ieee_overflow 0
		.amdhsa_exception_fp_ieee_underflow 0
		.amdhsa_exception_fp_ieee_inexact 0
		.amdhsa_exception_int_div_zero 0
	.end_amdhsa_kernel
	.section	.text._Z33head_segmented_warp_reduce_kernelI6__halfhLj64ELj2EENSt9enable_ifIXsr10test_utilsE35device_test_enabled_for_warp_size_vIXT2_EEEvE4typeEPT_PT0_S5_,"axG",@progbits,_Z33head_segmented_warp_reduce_kernelI6__halfhLj64ELj2EENSt9enable_ifIXsr10test_utilsE35device_test_enabled_for_warp_size_vIXT2_EEEvE4typeEPT_PT0_S5_,comdat
.Lfunc_end167:
	.size	_Z33head_segmented_warp_reduce_kernelI6__halfhLj64ELj2EENSt9enable_ifIXsr10test_utilsE35device_test_enabled_for_warp_size_vIXT2_EEEvE4typeEPT_PT0_S5_, .Lfunc_end167-_Z33head_segmented_warp_reduce_kernelI6__halfhLj64ELj2EENSt9enable_ifIXsr10test_utilsE35device_test_enabled_for_warp_size_vIXT2_EEEvE4typeEPT_PT0_S5_
                                        ; -- End function
	.section	.AMDGPU.csdata,"",@progbits
; Kernel info:
; codeLenInByte = 236
; NumSgprs: 14
; NumVgprs: 10
; NumAgprs: 0
; TotalNumVgprs: 10
; ScratchSize: 0
; MemoryBound: 0
; FloatMode: 240
; IeeeMode: 1
; LDSByteSize: 0 bytes/workgroup (compile time only)
; SGPRBlocks: 1
; VGPRBlocks: 1
; NumSGPRsForWavesPerEU: 14
; NumVGPRsForWavesPerEU: 10
; AccumOffset: 12
; Occupancy: 8
; WaveLimiterHint : 0
; COMPUTE_PGM_RSRC2:SCRATCH_EN: 0
; COMPUTE_PGM_RSRC2:USER_SGPR: 6
; COMPUTE_PGM_RSRC2:TRAP_HANDLER: 0
; COMPUTE_PGM_RSRC2:TGID_X_EN: 1
; COMPUTE_PGM_RSRC2:TGID_Y_EN: 0
; COMPUTE_PGM_RSRC2:TGID_Z_EN: 0
; COMPUTE_PGM_RSRC2:TIDIG_COMP_CNT: 0
; COMPUTE_PGM_RSRC3_GFX90A:ACCUM_OFFSET: 2
; COMPUTE_PGM_RSRC3_GFX90A:TG_SPLIT: 0
	.section	.text._Z33head_segmented_warp_reduce_kernelI6__halfhLj32ELj1EENSt9enable_ifIXsr10test_utilsE35device_test_enabled_for_warp_size_vIXT2_EEEvE4typeEPT_PT0_S5_,"axG",@progbits,_Z33head_segmented_warp_reduce_kernelI6__halfhLj32ELj1EENSt9enable_ifIXsr10test_utilsE35device_test_enabled_for_warp_size_vIXT2_EEEvE4typeEPT_PT0_S5_,comdat
	.protected	_Z33head_segmented_warp_reduce_kernelI6__halfhLj32ELj1EENSt9enable_ifIXsr10test_utilsE35device_test_enabled_for_warp_size_vIXT2_EEEvE4typeEPT_PT0_S5_ ; -- Begin function _Z33head_segmented_warp_reduce_kernelI6__halfhLj32ELj1EENSt9enable_ifIXsr10test_utilsE35device_test_enabled_for_warp_size_vIXT2_EEEvE4typeEPT_PT0_S5_
	.globl	_Z33head_segmented_warp_reduce_kernelI6__halfhLj32ELj1EENSt9enable_ifIXsr10test_utilsE35device_test_enabled_for_warp_size_vIXT2_EEEvE4typeEPT_PT0_S5_
	.p2align	8
	.type	_Z33head_segmented_warp_reduce_kernelI6__halfhLj32ELj1EENSt9enable_ifIXsr10test_utilsE35device_test_enabled_for_warp_size_vIXT2_EEEvE4typeEPT_PT0_S5_,@function
_Z33head_segmented_warp_reduce_kernelI6__halfhLj32ELj1EENSt9enable_ifIXsr10test_utilsE35device_test_enabled_for_warp_size_vIXT2_EEEvE4typeEPT_PT0_S5_: ; @_Z33head_segmented_warp_reduce_kernelI6__halfhLj32ELj1EENSt9enable_ifIXsr10test_utilsE35device_test_enabled_for_warp_size_vIXT2_EEEvE4typeEPT_PT0_S5_
; %bb.0:
	s_load_dword s7, s[4:5], 0x24
	s_load_dwordx2 s[0:1], s[4:5], 0x0
	s_load_dwordx2 s[2:3], s[4:5], 0x10
	v_mov_b32_e32 v1, 0
	s_waitcnt lgkmcnt(0)
	s_and_b32 s4, s7, 0xffff
	s_mul_i32 s6, s6, s4
	v_add_u32_e32 v0, s6, v0
	v_lshlrev_b64 v[0:1], 1, v[0:1]
	v_mov_b32_e32 v3, s1
	v_add_co_u32_e32 v2, vcc, s0, v0
	v_addc_co_u32_e32 v3, vcc, v3, v1, vcc
	global_load_ushort v2, v[2:3], off
	v_mov_b32_e32 v3, s3
	v_add_co_u32_e32 v0, vcc, s2, v0
	v_addc_co_u32_e32 v1, vcc, v3, v1, vcc
	s_waitcnt vmcnt(0)
	global_store_short v[0:1], v2, off
	s_endpgm
	.section	.rodata,"a",@progbits
	.p2align	6, 0x0
	.amdhsa_kernel _Z33head_segmented_warp_reduce_kernelI6__halfhLj32ELj1EENSt9enable_ifIXsr10test_utilsE35device_test_enabled_for_warp_size_vIXT2_EEEvE4typeEPT_PT0_S5_
		.amdhsa_group_segment_fixed_size 0
		.amdhsa_private_segment_fixed_size 0
		.amdhsa_kernarg_size 280
		.amdhsa_user_sgpr_count 6
		.amdhsa_user_sgpr_private_segment_buffer 1
		.amdhsa_user_sgpr_dispatch_ptr 0
		.amdhsa_user_sgpr_queue_ptr 0
		.amdhsa_user_sgpr_kernarg_segment_ptr 1
		.amdhsa_user_sgpr_dispatch_id 0
		.amdhsa_user_sgpr_flat_scratch_init 0
		.amdhsa_user_sgpr_kernarg_preload_length 0
		.amdhsa_user_sgpr_kernarg_preload_offset 0
		.amdhsa_user_sgpr_private_segment_size 0
		.amdhsa_uses_dynamic_stack 0
		.amdhsa_system_sgpr_private_segment_wavefront_offset 0
		.amdhsa_system_sgpr_workgroup_id_x 1
		.amdhsa_system_sgpr_workgroup_id_y 0
		.amdhsa_system_sgpr_workgroup_id_z 0
		.amdhsa_system_sgpr_workgroup_info 0
		.amdhsa_system_vgpr_workitem_id 0
		.amdhsa_next_free_vgpr 4
		.amdhsa_next_free_sgpr 8
		.amdhsa_accum_offset 4
		.amdhsa_reserve_vcc 1
		.amdhsa_reserve_flat_scratch 0
		.amdhsa_float_round_mode_32 0
		.amdhsa_float_round_mode_16_64 0
		.amdhsa_float_denorm_mode_32 3
		.amdhsa_float_denorm_mode_16_64 3
		.amdhsa_dx10_clamp 1
		.amdhsa_ieee_mode 1
		.amdhsa_fp16_overflow 0
		.amdhsa_tg_split 0
		.amdhsa_exception_fp_ieee_invalid_op 0
		.amdhsa_exception_fp_denorm_src 0
		.amdhsa_exception_fp_ieee_div_zero 0
		.amdhsa_exception_fp_ieee_overflow 0
		.amdhsa_exception_fp_ieee_underflow 0
		.amdhsa_exception_fp_ieee_inexact 0
		.amdhsa_exception_int_div_zero 0
	.end_amdhsa_kernel
	.section	.text._Z33head_segmented_warp_reduce_kernelI6__halfhLj32ELj1EENSt9enable_ifIXsr10test_utilsE35device_test_enabled_for_warp_size_vIXT2_EEEvE4typeEPT_PT0_S5_,"axG",@progbits,_Z33head_segmented_warp_reduce_kernelI6__halfhLj32ELj1EENSt9enable_ifIXsr10test_utilsE35device_test_enabled_for_warp_size_vIXT2_EEEvE4typeEPT_PT0_S5_,comdat
.Lfunc_end168:
	.size	_Z33head_segmented_warp_reduce_kernelI6__halfhLj32ELj1EENSt9enable_ifIXsr10test_utilsE35device_test_enabled_for_warp_size_vIXT2_EEEvE4typeEPT_PT0_S5_, .Lfunc_end168-_Z33head_segmented_warp_reduce_kernelI6__halfhLj32ELj1EENSt9enable_ifIXsr10test_utilsE35device_test_enabled_for_warp_size_vIXT2_EEEvE4typeEPT_PT0_S5_
                                        ; -- End function
	.section	.AMDGPU.csdata,"",@progbits
; Kernel info:
; codeLenInByte = 104
; NumSgprs: 12
; NumVgprs: 4
; NumAgprs: 0
; TotalNumVgprs: 4
; ScratchSize: 0
; MemoryBound: 0
; FloatMode: 240
; IeeeMode: 1
; LDSByteSize: 0 bytes/workgroup (compile time only)
; SGPRBlocks: 1
; VGPRBlocks: 0
; NumSGPRsForWavesPerEU: 12
; NumVGPRsForWavesPerEU: 4
; AccumOffset: 4
; Occupancy: 8
; WaveLimiterHint : 0
; COMPUTE_PGM_RSRC2:SCRATCH_EN: 0
; COMPUTE_PGM_RSRC2:USER_SGPR: 6
; COMPUTE_PGM_RSRC2:TRAP_HANDLER: 0
; COMPUTE_PGM_RSRC2:TGID_X_EN: 1
; COMPUTE_PGM_RSRC2:TGID_Y_EN: 0
; COMPUTE_PGM_RSRC2:TGID_Z_EN: 0
; COMPUTE_PGM_RSRC2:TIDIG_COMP_CNT: 0
; COMPUTE_PGM_RSRC3_GFX90A:ACCUM_OFFSET: 0
; COMPUTE_PGM_RSRC3_GFX90A:TG_SPLIT: 0
	.section	.text._Z33head_segmented_warp_reduce_kernelI6__halfhLj64ELj1EENSt9enable_ifIXsr10test_utilsE35device_test_enabled_for_warp_size_vIXT2_EEEvE4typeEPT_PT0_S5_,"axG",@progbits,_Z33head_segmented_warp_reduce_kernelI6__halfhLj64ELj1EENSt9enable_ifIXsr10test_utilsE35device_test_enabled_for_warp_size_vIXT2_EEEvE4typeEPT_PT0_S5_,comdat
	.protected	_Z33head_segmented_warp_reduce_kernelI6__halfhLj64ELj1EENSt9enable_ifIXsr10test_utilsE35device_test_enabled_for_warp_size_vIXT2_EEEvE4typeEPT_PT0_S5_ ; -- Begin function _Z33head_segmented_warp_reduce_kernelI6__halfhLj64ELj1EENSt9enable_ifIXsr10test_utilsE35device_test_enabled_for_warp_size_vIXT2_EEEvE4typeEPT_PT0_S5_
	.globl	_Z33head_segmented_warp_reduce_kernelI6__halfhLj64ELj1EENSt9enable_ifIXsr10test_utilsE35device_test_enabled_for_warp_size_vIXT2_EEEvE4typeEPT_PT0_S5_
	.p2align	8
	.type	_Z33head_segmented_warp_reduce_kernelI6__halfhLj64ELj1EENSt9enable_ifIXsr10test_utilsE35device_test_enabled_for_warp_size_vIXT2_EEEvE4typeEPT_PT0_S5_,@function
_Z33head_segmented_warp_reduce_kernelI6__halfhLj64ELj1EENSt9enable_ifIXsr10test_utilsE35device_test_enabled_for_warp_size_vIXT2_EEEvE4typeEPT_PT0_S5_: ; @_Z33head_segmented_warp_reduce_kernelI6__halfhLj64ELj1EENSt9enable_ifIXsr10test_utilsE35device_test_enabled_for_warp_size_vIXT2_EEEvE4typeEPT_PT0_S5_
; %bb.0:
	s_load_dword s7, s[4:5], 0x24
	s_load_dwordx2 s[0:1], s[4:5], 0x0
	s_load_dwordx2 s[2:3], s[4:5], 0x10
	v_mov_b32_e32 v1, 0
	s_waitcnt lgkmcnt(0)
	s_and_b32 s4, s7, 0xffff
	s_mul_i32 s6, s6, s4
	v_add_u32_e32 v0, s6, v0
	v_lshlrev_b64 v[0:1], 1, v[0:1]
	v_mov_b32_e32 v3, s1
	v_add_co_u32_e32 v2, vcc, s0, v0
	v_addc_co_u32_e32 v3, vcc, v3, v1, vcc
	global_load_ushort v2, v[2:3], off
	v_mov_b32_e32 v3, s3
	v_add_co_u32_e32 v0, vcc, s2, v0
	v_addc_co_u32_e32 v1, vcc, v3, v1, vcc
	s_waitcnt vmcnt(0)
	global_store_short v[0:1], v2, off
	s_endpgm
	.section	.rodata,"a",@progbits
	.p2align	6, 0x0
	.amdhsa_kernel _Z33head_segmented_warp_reduce_kernelI6__halfhLj64ELj1EENSt9enable_ifIXsr10test_utilsE35device_test_enabled_for_warp_size_vIXT2_EEEvE4typeEPT_PT0_S5_
		.amdhsa_group_segment_fixed_size 0
		.amdhsa_private_segment_fixed_size 0
		.amdhsa_kernarg_size 280
		.amdhsa_user_sgpr_count 6
		.amdhsa_user_sgpr_private_segment_buffer 1
		.amdhsa_user_sgpr_dispatch_ptr 0
		.amdhsa_user_sgpr_queue_ptr 0
		.amdhsa_user_sgpr_kernarg_segment_ptr 1
		.amdhsa_user_sgpr_dispatch_id 0
		.amdhsa_user_sgpr_flat_scratch_init 0
		.amdhsa_user_sgpr_kernarg_preload_length 0
		.amdhsa_user_sgpr_kernarg_preload_offset 0
		.amdhsa_user_sgpr_private_segment_size 0
		.amdhsa_uses_dynamic_stack 0
		.amdhsa_system_sgpr_private_segment_wavefront_offset 0
		.amdhsa_system_sgpr_workgroup_id_x 1
		.amdhsa_system_sgpr_workgroup_id_y 0
		.amdhsa_system_sgpr_workgroup_id_z 0
		.amdhsa_system_sgpr_workgroup_info 0
		.amdhsa_system_vgpr_workitem_id 0
		.amdhsa_next_free_vgpr 4
		.amdhsa_next_free_sgpr 8
		.amdhsa_accum_offset 4
		.amdhsa_reserve_vcc 1
		.amdhsa_reserve_flat_scratch 0
		.amdhsa_float_round_mode_32 0
		.amdhsa_float_round_mode_16_64 0
		.amdhsa_float_denorm_mode_32 3
		.amdhsa_float_denorm_mode_16_64 3
		.amdhsa_dx10_clamp 1
		.amdhsa_ieee_mode 1
		.amdhsa_fp16_overflow 0
		.amdhsa_tg_split 0
		.amdhsa_exception_fp_ieee_invalid_op 0
		.amdhsa_exception_fp_denorm_src 0
		.amdhsa_exception_fp_ieee_div_zero 0
		.amdhsa_exception_fp_ieee_overflow 0
		.amdhsa_exception_fp_ieee_underflow 0
		.amdhsa_exception_fp_ieee_inexact 0
		.amdhsa_exception_int_div_zero 0
	.end_amdhsa_kernel
	.section	.text._Z33head_segmented_warp_reduce_kernelI6__halfhLj64ELj1EENSt9enable_ifIXsr10test_utilsE35device_test_enabled_for_warp_size_vIXT2_EEEvE4typeEPT_PT0_S5_,"axG",@progbits,_Z33head_segmented_warp_reduce_kernelI6__halfhLj64ELj1EENSt9enable_ifIXsr10test_utilsE35device_test_enabled_for_warp_size_vIXT2_EEEvE4typeEPT_PT0_S5_,comdat
.Lfunc_end169:
	.size	_Z33head_segmented_warp_reduce_kernelI6__halfhLj64ELj1EENSt9enable_ifIXsr10test_utilsE35device_test_enabled_for_warp_size_vIXT2_EEEvE4typeEPT_PT0_S5_, .Lfunc_end169-_Z33head_segmented_warp_reduce_kernelI6__halfhLj64ELj1EENSt9enable_ifIXsr10test_utilsE35device_test_enabled_for_warp_size_vIXT2_EEEvE4typeEPT_PT0_S5_
                                        ; -- End function
	.section	.AMDGPU.csdata,"",@progbits
; Kernel info:
; codeLenInByte = 104
; NumSgprs: 12
; NumVgprs: 4
; NumAgprs: 0
; TotalNumVgprs: 4
; ScratchSize: 0
; MemoryBound: 0
; FloatMode: 240
; IeeeMode: 1
; LDSByteSize: 0 bytes/workgroup (compile time only)
; SGPRBlocks: 1
; VGPRBlocks: 0
; NumSGPRsForWavesPerEU: 12
; NumVGPRsForWavesPerEU: 4
; AccumOffset: 4
; Occupancy: 8
; WaveLimiterHint : 0
; COMPUTE_PGM_RSRC2:SCRATCH_EN: 0
; COMPUTE_PGM_RSRC2:USER_SGPR: 6
; COMPUTE_PGM_RSRC2:TRAP_HANDLER: 0
; COMPUTE_PGM_RSRC2:TGID_X_EN: 1
; COMPUTE_PGM_RSRC2:TGID_Y_EN: 0
; COMPUTE_PGM_RSRC2:TGID_Z_EN: 0
; COMPUTE_PGM_RSRC2:TIDIG_COMP_CNT: 0
; COMPUTE_PGM_RSRC3_GFX90A:ACCUM_OFFSET: 0
; COMPUTE_PGM_RSRC3_GFX90A:TG_SPLIT: 0
	.section	.text._Z33head_segmented_warp_reduce_kernelIfhLj256ELj64EENSt9enable_ifIXsr10test_utilsE35device_test_enabled_for_warp_size_vIXT2_EEEvE4typeEPT_PT0_S4_,"axG",@progbits,_Z33head_segmented_warp_reduce_kernelIfhLj256ELj64EENSt9enable_ifIXsr10test_utilsE35device_test_enabled_for_warp_size_vIXT2_EEEvE4typeEPT_PT0_S4_,comdat
	.protected	_Z33head_segmented_warp_reduce_kernelIfhLj256ELj64EENSt9enable_ifIXsr10test_utilsE35device_test_enabled_for_warp_size_vIXT2_EEEvE4typeEPT_PT0_S4_ ; -- Begin function _Z33head_segmented_warp_reduce_kernelIfhLj256ELj64EENSt9enable_ifIXsr10test_utilsE35device_test_enabled_for_warp_size_vIXT2_EEEvE4typeEPT_PT0_S4_
	.globl	_Z33head_segmented_warp_reduce_kernelIfhLj256ELj64EENSt9enable_ifIXsr10test_utilsE35device_test_enabled_for_warp_size_vIXT2_EEEvE4typeEPT_PT0_S4_
	.p2align	8
	.type	_Z33head_segmented_warp_reduce_kernelIfhLj256ELj64EENSt9enable_ifIXsr10test_utilsE35device_test_enabled_for_warp_size_vIXT2_EEEvE4typeEPT_PT0_S4_,@function
_Z33head_segmented_warp_reduce_kernelIfhLj256ELj64EENSt9enable_ifIXsr10test_utilsE35device_test_enabled_for_warp_size_vIXT2_EEEvE4typeEPT_PT0_S4_: ; @_Z33head_segmented_warp_reduce_kernelIfhLj256ELj64EENSt9enable_ifIXsr10test_utilsE35device_test_enabled_for_warp_size_vIXT2_EEEvE4typeEPT_PT0_S4_
; %bb.0:
	s_load_dword s2, s[4:5], 0x24
	s_load_dwordx4 s[8:11], s[4:5], 0x0
	s_load_dwordx2 s[0:1], s[4:5], 0x10
	v_mov_b32_e32 v1, 0
	s_waitcnt lgkmcnt(0)
	s_and_b32 s2, s2, 0xffff
	s_mul_i32 s6, s6, s2
	v_add_u32_e32 v0, s6, v0
	v_lshlrev_b64 v[2:3], 2, v[0:1]
	v_mov_b32_e32 v1, s9
	global_load_ubyte v4, v0, s[10:11]
	v_add_co_u32_e32 v0, vcc, s8, v2
	v_addc_co_u32_e32 v1, vcc, v1, v3, vcc
	global_load_dword v5, v[0:1], off
	v_mbcnt_lo_u32_b32 v0, -1, 0
	v_mbcnt_hi_u32_b32 v6, -1, v0
	v_and_b32_e32 v7, 63, v6
	v_cmp_ne_u32_e32 vcc, 63, v7
	v_addc_co_u32_e32 v13, vcc, 0, v6, vcc
	v_cmp_gt_u32_e32 vcc, 62, v7
	v_cndmask_b32_e64 v14, 0, 1, vcc
	v_lshlrev_b64 v[0:1], v6, -1
	v_lshlrev_b32_e32 v13, 2, v13
	v_add_u32_e32 v8, 1, v6
	v_lshlrev_b32_e32 v14, 1, v14
	v_add_lshl_u32 v14, v14, v6, 2
	v_add_u32_e32 v9, 2, v6
	v_add_u32_e32 v10, 4, v6
	;; [unrolled: 1-line block ×4, first 2 shown]
	s_waitcnt vmcnt(1)
	v_cmp_ne_u16_e32 vcc, 0, v4
	s_lshr_b64 s[2:3], vcc, 1
	v_and_b32_e32 v1, s3, v1
	v_or_b32_e32 v1, 0x80000000, v1
	v_and_b32_e32 v0, s2, v0
	s_waitcnt vmcnt(0)
	ds_bpermute_b32 v4, v13, v5
	v_ffbl_b32_e32 v1, v1
	v_ffbl_b32_e32 v0, v0
	v_add_u32_e32 v1, 32, v1
	v_min_u32_e32 v0, v0, v1
	s_waitcnt lgkmcnt(0)
	v_add_f32_e32 v1, v5, v4
	v_cmp_gt_u32_e32 vcc, v8, v0
	v_cndmask_b32_e32 v1, v1, v5, vcc
	ds_bpermute_b32 v4, v14, v1
	v_cmp_gt_u32_e32 vcc, 60, v7
	v_cndmask_b32_e64 v5, 0, 1, vcc
	v_lshlrev_b32_e32 v5, 2, v5
	v_cmp_gt_u32_e32 vcc, v9, v0
	s_waitcnt lgkmcnt(0)
	v_add_f32_e32 v4, v1, v4
	v_add_lshl_u32 v5, v5, v6, 2
	v_cndmask_b32_e32 v1, v4, v1, vcc
	ds_bpermute_b32 v4, v5, v1
	v_cmp_gt_u32_e32 vcc, 56, v7
	v_cndmask_b32_e64 v5, 0, 1, vcc
	v_lshlrev_b32_e32 v5, 3, v5
	v_cmp_gt_u32_e32 vcc, v10, v0
	s_waitcnt lgkmcnt(0)
	v_add_f32_e32 v4, v1, v4
	v_add_lshl_u32 v5, v5, v6, 2
	;; [unrolled: 9-line block ×4, first 2 shown]
	v_cndmask_b32_e32 v1, v4, v1, vcc
	ds_bpermute_b32 v4, v5, v1
	v_add_u32_e32 v5, 32, v6
	v_cmp_gt_u32_e32 vcc, v5, v0
	v_mov_b32_e32 v6, s1
	s_waitcnt lgkmcnt(0)
	v_add_f32_e32 v4, v1, v4
	v_cndmask_b32_e32 v4, v4, v1, vcc
	v_add_co_u32_e32 v0, vcc, s0, v2
	v_addc_co_u32_e32 v1, vcc, v6, v3, vcc
	global_store_dword v[0:1], v4, off
	s_endpgm
	.section	.rodata,"a",@progbits
	.p2align	6, 0x0
	.amdhsa_kernel _Z33head_segmented_warp_reduce_kernelIfhLj256ELj64EENSt9enable_ifIXsr10test_utilsE35device_test_enabled_for_warp_size_vIXT2_EEEvE4typeEPT_PT0_S4_
		.amdhsa_group_segment_fixed_size 0
		.amdhsa_private_segment_fixed_size 0
		.amdhsa_kernarg_size 280
		.amdhsa_user_sgpr_count 6
		.amdhsa_user_sgpr_private_segment_buffer 1
		.amdhsa_user_sgpr_dispatch_ptr 0
		.amdhsa_user_sgpr_queue_ptr 0
		.amdhsa_user_sgpr_kernarg_segment_ptr 1
		.amdhsa_user_sgpr_dispatch_id 0
		.amdhsa_user_sgpr_flat_scratch_init 0
		.amdhsa_user_sgpr_kernarg_preload_length 0
		.amdhsa_user_sgpr_kernarg_preload_offset 0
		.amdhsa_user_sgpr_private_segment_size 0
		.amdhsa_uses_dynamic_stack 0
		.amdhsa_system_sgpr_private_segment_wavefront_offset 0
		.amdhsa_system_sgpr_workgroup_id_x 1
		.amdhsa_system_sgpr_workgroup_id_y 0
		.amdhsa_system_sgpr_workgroup_id_z 0
		.amdhsa_system_sgpr_workgroup_info 0
		.amdhsa_system_vgpr_workitem_id 0
		.amdhsa_next_free_vgpr 15
		.amdhsa_next_free_sgpr 12
		.amdhsa_accum_offset 16
		.amdhsa_reserve_vcc 1
		.amdhsa_reserve_flat_scratch 0
		.amdhsa_float_round_mode_32 0
		.amdhsa_float_round_mode_16_64 0
		.amdhsa_float_denorm_mode_32 3
		.amdhsa_float_denorm_mode_16_64 3
		.amdhsa_dx10_clamp 1
		.amdhsa_ieee_mode 1
		.amdhsa_fp16_overflow 0
		.amdhsa_tg_split 0
		.amdhsa_exception_fp_ieee_invalid_op 0
		.amdhsa_exception_fp_denorm_src 0
		.amdhsa_exception_fp_ieee_div_zero 0
		.amdhsa_exception_fp_ieee_overflow 0
		.amdhsa_exception_fp_ieee_underflow 0
		.amdhsa_exception_fp_ieee_inexact 0
		.amdhsa_exception_int_div_zero 0
	.end_amdhsa_kernel
	.section	.text._Z33head_segmented_warp_reduce_kernelIfhLj256ELj64EENSt9enable_ifIXsr10test_utilsE35device_test_enabled_for_warp_size_vIXT2_EEEvE4typeEPT_PT0_S4_,"axG",@progbits,_Z33head_segmented_warp_reduce_kernelIfhLj256ELj64EENSt9enable_ifIXsr10test_utilsE35device_test_enabled_for_warp_size_vIXT2_EEEvE4typeEPT_PT0_S4_,comdat
.Lfunc_end170:
	.size	_Z33head_segmented_warp_reduce_kernelIfhLj256ELj64EENSt9enable_ifIXsr10test_utilsE35device_test_enabled_for_warp_size_vIXT2_EEEvE4typeEPT_PT0_S4_, .Lfunc_end170-_Z33head_segmented_warp_reduce_kernelIfhLj256ELj64EENSt9enable_ifIXsr10test_utilsE35device_test_enabled_for_warp_size_vIXT2_EEEvE4typeEPT_PT0_S4_
                                        ; -- End function
	.section	.AMDGPU.csdata,"",@progbits
; Kernel info:
; codeLenInByte = 484
; NumSgprs: 16
; NumVgprs: 15
; NumAgprs: 0
; TotalNumVgprs: 15
; ScratchSize: 0
; MemoryBound: 0
; FloatMode: 240
; IeeeMode: 1
; LDSByteSize: 0 bytes/workgroup (compile time only)
; SGPRBlocks: 1
; VGPRBlocks: 1
; NumSGPRsForWavesPerEU: 16
; NumVGPRsForWavesPerEU: 15
; AccumOffset: 16
; Occupancy: 8
; WaveLimiterHint : 0
; COMPUTE_PGM_RSRC2:SCRATCH_EN: 0
; COMPUTE_PGM_RSRC2:USER_SGPR: 6
; COMPUTE_PGM_RSRC2:TRAP_HANDLER: 0
; COMPUTE_PGM_RSRC2:TGID_X_EN: 1
; COMPUTE_PGM_RSRC2:TGID_Y_EN: 0
; COMPUTE_PGM_RSRC2:TGID_Z_EN: 0
; COMPUTE_PGM_RSRC2:TIDIG_COMP_CNT: 0
; COMPUTE_PGM_RSRC3_GFX90A:ACCUM_OFFSET: 3
; COMPUTE_PGM_RSRC3_GFX90A:TG_SPLIT: 0
	.section	.text._Z33head_segmented_warp_reduce_kernelIfhLj128ELj32EENSt9enable_ifIXsr10test_utilsE35device_test_enabled_for_warp_size_vIXT2_EEEvE4typeEPT_PT0_S4_,"axG",@progbits,_Z33head_segmented_warp_reduce_kernelIfhLj128ELj32EENSt9enable_ifIXsr10test_utilsE35device_test_enabled_for_warp_size_vIXT2_EEEvE4typeEPT_PT0_S4_,comdat
	.protected	_Z33head_segmented_warp_reduce_kernelIfhLj128ELj32EENSt9enable_ifIXsr10test_utilsE35device_test_enabled_for_warp_size_vIXT2_EEEvE4typeEPT_PT0_S4_ ; -- Begin function _Z33head_segmented_warp_reduce_kernelIfhLj128ELj32EENSt9enable_ifIXsr10test_utilsE35device_test_enabled_for_warp_size_vIXT2_EEEvE4typeEPT_PT0_S4_
	.globl	_Z33head_segmented_warp_reduce_kernelIfhLj128ELj32EENSt9enable_ifIXsr10test_utilsE35device_test_enabled_for_warp_size_vIXT2_EEEvE4typeEPT_PT0_S4_
	.p2align	8
	.type	_Z33head_segmented_warp_reduce_kernelIfhLj128ELj32EENSt9enable_ifIXsr10test_utilsE35device_test_enabled_for_warp_size_vIXT2_EEEvE4typeEPT_PT0_S4_,@function
_Z33head_segmented_warp_reduce_kernelIfhLj128ELj32EENSt9enable_ifIXsr10test_utilsE35device_test_enabled_for_warp_size_vIXT2_EEEvE4typeEPT_PT0_S4_: ; @_Z33head_segmented_warp_reduce_kernelIfhLj128ELj32EENSt9enable_ifIXsr10test_utilsE35device_test_enabled_for_warp_size_vIXT2_EEEvE4typeEPT_PT0_S4_
; %bb.0:
	s_load_dword s7, s[4:5], 0x24
	s_load_dwordx4 s[0:3], s[4:5], 0x0
	s_load_dwordx2 s[8:9], s[4:5], 0x10
	v_mov_b32_e32 v1, 0
	s_waitcnt lgkmcnt(0)
	s_and_b32 s4, s7, 0xffff
	s_mul_i32 s6, s6, s4
	v_add_u32_e32 v0, s6, v0
	v_lshlrev_b64 v[2:3], 2, v[0:1]
	v_mov_b32_e32 v1, s1
	global_load_ubyte v4, v0, s[2:3]
	v_add_co_u32_e32 v0, vcc, s0, v2
	v_addc_co_u32_e32 v1, vcc, v1, v3, vcc
	global_load_dword v5, v[0:1], off
	v_mbcnt_lo_u32_b32 v0, -1, 0
	v_mbcnt_hi_u32_b32 v6, -1, v0
	v_and_b32_e32 v8, 31, v6
	v_cmp_ne_u32_e32 vcc, 31, v8
	v_addc_co_u32_e32 v9, vcc, 0, v6, vcc
	v_cmp_gt_u32_e32 vcc, 30, v8
	v_cndmask_b32_e64 v11, 0, 1, vcc
	v_lshlrev_b64 v[0:1], v6, -1
	v_lshlrev_b32_e32 v9, 2, v9
	v_and_b32_e32 v7, 0x60, v6
	v_lshlrev_b32_e32 v11, 1, v11
	v_add_lshl_u32 v11, v11, v6, 2
	v_add_u32_e32 v10, 2, v8
	v_add_u32_e32 v12, 4, v8
	v_cmp_gt_u32_e64 s[2:3], 16, v8
	s_waitcnt vmcnt(1)
	v_cmp_ne_u16_e32 vcc, 0, v4
	s_lshr_b64 s[0:1], vcc, 1
	v_and_b32_e32 v1, s1, v1
	v_and_b32_e32 v0, s0, v0
	v_lshrrev_b64 v[0:1], v7, v[0:1]
	s_waitcnt vmcnt(0)
	ds_bpermute_b32 v4, v9, v5
	v_or_b32_e32 v0, 0x80000000, v0
	v_ffbl_b32_e32 v1, v1
	v_add_u32_e32 v1, 32, v1
	v_ffbl_b32_e32 v0, v0
	v_min_u32_e32 v0, v0, v1
	s_waitcnt lgkmcnt(0)
	v_add_f32_e32 v1, v5, v4
	v_cmp_lt_u32_e32 vcc, v8, v0
	v_cndmask_b32_e32 v1, v5, v1, vcc
	ds_bpermute_b32 v4, v11, v1
	v_cmp_gt_u32_e64 s[0:1], 28, v8
	v_cndmask_b32_e64 v7, 0, 1, s[0:1]
	v_lshlrev_b32_e32 v7, 2, v7
	v_cmp_gt_u32_e64 s[0:1], v10, v0
	s_waitcnt lgkmcnt(0)
	v_add_f32_e32 v4, v1, v4
	v_add_lshl_u32 v7, v7, v6, 2
	v_cndmask_b32_e64 v1, v4, v1, s[0:1]
	ds_bpermute_b32 v4, v7, v1
	v_cmp_gt_u32_e64 s[0:1], 24, v8
	v_cndmask_b32_e64 v7, 0, 1, s[0:1]
	v_lshlrev_b32_e32 v7, 3, v7
	v_cmp_gt_u32_e64 s[0:1], v12, v0
	s_waitcnt lgkmcnt(0)
	v_add_f32_e32 v4, v1, v4
	v_add_lshl_u32 v7, v7, v6, 2
	v_cndmask_b32_e64 v11, v4, v1, s[0:1]
	ds_bpermute_b32 v7, v7, v11
	v_add_u32_e32 v9, 8, v8
	v_add_u32_e32 v10, 16, v8
	v_cndmask_b32_e64 v8, 0, 1, s[2:3]
	v_lshlrev_b32_e32 v8, 4, v8
	s_waitcnt lgkmcnt(0)
	v_add_f32_e32 v7, v11, v7
	v_cmp_gt_u32_e64 s[2:3], v9, v0
	v_add_lshl_u32 v6, v8, v6, 2
	v_cndmask_b32_e64 v8, v7, v11, s[2:3]
	ds_bpermute_b32 v6, v6, v8
	v_cndmask_b32_e32 v1, v5, v1, vcc
	v_cndmask_b32_e64 v1, v4, v1, s[0:1]
	v_cndmask_b32_e64 v1, v7, v1, s[2:3]
	v_cmp_gt_u32_e32 vcc, v10, v0
	s_waitcnt lgkmcnt(0)
	v_add_f32_e32 v4, v8, v6
	v_mov_b32_e32 v9, s9
	v_cndmask_b32_e32 v4, v4, v1, vcc
	v_add_co_u32_e32 v0, vcc, s8, v2
	v_addc_co_u32_e32 v1, vcc, v9, v3, vcc
	global_store_dword v[0:1], v4, off
	s_endpgm
	.section	.rodata,"a",@progbits
	.p2align	6, 0x0
	.amdhsa_kernel _Z33head_segmented_warp_reduce_kernelIfhLj128ELj32EENSt9enable_ifIXsr10test_utilsE35device_test_enabled_for_warp_size_vIXT2_EEEvE4typeEPT_PT0_S4_
		.amdhsa_group_segment_fixed_size 0
		.amdhsa_private_segment_fixed_size 0
		.amdhsa_kernarg_size 280
		.amdhsa_user_sgpr_count 6
		.amdhsa_user_sgpr_private_segment_buffer 1
		.amdhsa_user_sgpr_dispatch_ptr 0
		.amdhsa_user_sgpr_queue_ptr 0
		.amdhsa_user_sgpr_kernarg_segment_ptr 1
		.amdhsa_user_sgpr_dispatch_id 0
		.amdhsa_user_sgpr_flat_scratch_init 0
		.amdhsa_user_sgpr_kernarg_preload_length 0
		.amdhsa_user_sgpr_kernarg_preload_offset 0
		.amdhsa_user_sgpr_private_segment_size 0
		.amdhsa_uses_dynamic_stack 0
		.amdhsa_system_sgpr_private_segment_wavefront_offset 0
		.amdhsa_system_sgpr_workgroup_id_x 1
		.amdhsa_system_sgpr_workgroup_id_y 0
		.amdhsa_system_sgpr_workgroup_id_z 0
		.amdhsa_system_sgpr_workgroup_info 0
		.amdhsa_system_vgpr_workitem_id 0
		.amdhsa_next_free_vgpr 13
		.amdhsa_next_free_sgpr 10
		.amdhsa_accum_offset 16
		.amdhsa_reserve_vcc 1
		.amdhsa_reserve_flat_scratch 0
		.amdhsa_float_round_mode_32 0
		.amdhsa_float_round_mode_16_64 0
		.amdhsa_float_denorm_mode_32 3
		.amdhsa_float_denorm_mode_16_64 3
		.amdhsa_dx10_clamp 1
		.amdhsa_ieee_mode 1
		.amdhsa_fp16_overflow 0
		.amdhsa_tg_split 0
		.amdhsa_exception_fp_ieee_invalid_op 0
		.amdhsa_exception_fp_denorm_src 0
		.amdhsa_exception_fp_ieee_div_zero 0
		.amdhsa_exception_fp_ieee_overflow 0
		.amdhsa_exception_fp_ieee_underflow 0
		.amdhsa_exception_fp_ieee_inexact 0
		.amdhsa_exception_int_div_zero 0
	.end_amdhsa_kernel
	.section	.text._Z33head_segmented_warp_reduce_kernelIfhLj128ELj32EENSt9enable_ifIXsr10test_utilsE35device_test_enabled_for_warp_size_vIXT2_EEEvE4typeEPT_PT0_S4_,"axG",@progbits,_Z33head_segmented_warp_reduce_kernelIfhLj128ELj32EENSt9enable_ifIXsr10test_utilsE35device_test_enabled_for_warp_size_vIXT2_EEEvE4typeEPT_PT0_S4_,comdat
.Lfunc_end171:
	.size	_Z33head_segmented_warp_reduce_kernelIfhLj128ELj32EENSt9enable_ifIXsr10test_utilsE35device_test_enabled_for_warp_size_vIXT2_EEEvE4typeEPT_PT0_S4_, .Lfunc_end171-_Z33head_segmented_warp_reduce_kernelIfhLj128ELj32EENSt9enable_ifIXsr10test_utilsE35device_test_enabled_for_warp_size_vIXT2_EEEvE4typeEPT_PT0_S4_
                                        ; -- End function
	.section	.AMDGPU.csdata,"",@progbits
; Kernel info:
; codeLenInByte = 500
; NumSgprs: 14
; NumVgprs: 13
; NumAgprs: 0
; TotalNumVgprs: 13
; ScratchSize: 0
; MemoryBound: 0
; FloatMode: 240
; IeeeMode: 1
; LDSByteSize: 0 bytes/workgroup (compile time only)
; SGPRBlocks: 1
; VGPRBlocks: 1
; NumSGPRsForWavesPerEU: 14
; NumVGPRsForWavesPerEU: 13
; AccumOffset: 16
; Occupancy: 8
; WaveLimiterHint : 0
; COMPUTE_PGM_RSRC2:SCRATCH_EN: 0
; COMPUTE_PGM_RSRC2:USER_SGPR: 6
; COMPUTE_PGM_RSRC2:TRAP_HANDLER: 0
; COMPUTE_PGM_RSRC2:TGID_X_EN: 1
; COMPUTE_PGM_RSRC2:TGID_Y_EN: 0
; COMPUTE_PGM_RSRC2:TGID_Z_EN: 0
; COMPUTE_PGM_RSRC2:TIDIG_COMP_CNT: 0
; COMPUTE_PGM_RSRC3_GFX90A:ACCUM_OFFSET: 3
; COMPUTE_PGM_RSRC3_GFX90A:TG_SPLIT: 0
	.section	.text._Z33head_segmented_warp_reduce_kernelIfhLj64ELj16EENSt9enable_ifIXsr10test_utilsE35device_test_enabled_for_warp_size_vIXT2_EEEvE4typeEPT_PT0_S4_,"axG",@progbits,_Z33head_segmented_warp_reduce_kernelIfhLj64ELj16EENSt9enable_ifIXsr10test_utilsE35device_test_enabled_for_warp_size_vIXT2_EEEvE4typeEPT_PT0_S4_,comdat
	.protected	_Z33head_segmented_warp_reduce_kernelIfhLj64ELj16EENSt9enable_ifIXsr10test_utilsE35device_test_enabled_for_warp_size_vIXT2_EEEvE4typeEPT_PT0_S4_ ; -- Begin function _Z33head_segmented_warp_reduce_kernelIfhLj64ELj16EENSt9enable_ifIXsr10test_utilsE35device_test_enabled_for_warp_size_vIXT2_EEEvE4typeEPT_PT0_S4_
	.globl	_Z33head_segmented_warp_reduce_kernelIfhLj64ELj16EENSt9enable_ifIXsr10test_utilsE35device_test_enabled_for_warp_size_vIXT2_EEEvE4typeEPT_PT0_S4_
	.p2align	8
	.type	_Z33head_segmented_warp_reduce_kernelIfhLj64ELj16EENSt9enable_ifIXsr10test_utilsE35device_test_enabled_for_warp_size_vIXT2_EEEvE4typeEPT_PT0_S4_,@function
_Z33head_segmented_warp_reduce_kernelIfhLj64ELj16EENSt9enable_ifIXsr10test_utilsE35device_test_enabled_for_warp_size_vIXT2_EEEvE4typeEPT_PT0_S4_: ; @_Z33head_segmented_warp_reduce_kernelIfhLj64ELj16EENSt9enable_ifIXsr10test_utilsE35device_test_enabled_for_warp_size_vIXT2_EEEvE4typeEPT_PT0_S4_
; %bb.0:
	s_load_dword s0, s[4:5], 0x24
	s_load_dwordx4 s[8:11], s[4:5], 0x0
	s_load_dwordx2 s[2:3], s[4:5], 0x10
	v_mov_b32_e32 v1, 0
	s_waitcnt lgkmcnt(0)
	s_and_b32 s0, s0, 0xffff
	s_mul_i32 s6, s6, s0
	v_add_u32_e32 v0, s6, v0
	v_lshlrev_b64 v[2:3], 2, v[0:1]
	v_mov_b32_e32 v1, s9
	global_load_ubyte v4, v0, s[10:11]
	v_add_co_u32_e32 v0, vcc, s8, v2
	v_addc_co_u32_e32 v1, vcc, v1, v3, vcc
	global_load_dword v5, v[0:1], off
	v_mbcnt_lo_u32_b32 v0, -1, 0
	v_mbcnt_hi_u32_b32 v6, -1, v0
	v_and_b32_e32 v8, 15, v6
	v_cmp_ne_u32_e32 vcc, 15, v8
	v_addc_co_u32_e32 v9, vcc, 0, v6, vcc
	v_cmp_gt_u32_e32 vcc, 14, v8
	v_cndmask_b32_e64 v11, 0, 1, vcc
	v_lshlrev_b64 v[0:1], v6, -1
	v_lshlrev_b32_e32 v9, 2, v9
	v_and_b32_e32 v7, 0x70, v6
	v_lshlrev_b32_e32 v11, 1, v11
	v_add_lshl_u32 v11, v11, v6, 2
	v_add_u32_e32 v10, 2, v8
	v_add_u32_e32 v12, 4, v8
	s_waitcnt vmcnt(1)
	v_cmp_ne_u16_e32 vcc, 0, v4
	s_lshr_b64 s[0:1], vcc, 1
	v_and_b32_e32 v1, s1, v1
	v_and_b32_e32 v0, s0, v0
	v_lshrrev_b64 v[0:1], v7, v[0:1]
	s_waitcnt vmcnt(0)
	ds_bpermute_b32 v4, v9, v5
	v_or_b32_e32 v0, 0x8000, v0
	v_ffbl_b32_e32 v1, v1
	v_add_u32_e32 v1, 32, v1
	v_ffbl_b32_e32 v0, v0
	v_min_u32_e32 v0, v0, v1
	s_waitcnt lgkmcnt(0)
	v_add_f32_e32 v1, v5, v4
	v_cmp_lt_u32_e32 vcc, v8, v0
	v_cndmask_b32_e32 v1, v5, v1, vcc
	ds_bpermute_b32 v4, v11, v1
	v_cmp_gt_u32_e64 s[0:1], 12, v8
	v_cndmask_b32_e64 v7, 0, 1, s[0:1]
	v_lshlrev_b32_e32 v7, 2, v7
	v_cmp_gt_u32_e64 s[0:1], v10, v0
	s_waitcnt lgkmcnt(0)
	v_add_f32_e32 v4, v1, v4
	v_add_lshl_u32 v7, v7, v6, 2
	v_cndmask_b32_e64 v1, v4, v1, s[0:1]
	ds_bpermute_b32 v4, v7, v1
	v_cmp_gt_u32_e64 s[0:1], 8, v8
	v_cndmask_b32_e64 v7, 0, 1, s[0:1]
	v_lshlrev_b32_e32 v7, 3, v7
	v_cmp_gt_u32_e64 s[0:1], v12, v0
	s_waitcnt lgkmcnt(0)
	v_add_f32_e32 v4, v1, v4
	v_add_lshl_u32 v6, v7, v6, 2
	v_cndmask_b32_e64 v7, v4, v1, s[0:1]
	ds_bpermute_b32 v6, v6, v7
	v_add_u32_e32 v8, 8, v8
	v_cndmask_b32_e32 v1, v5, v1, vcc
	v_cndmask_b32_e64 v1, v4, v1, s[0:1]
	v_cmp_gt_u32_e32 vcc, v8, v0
	s_waitcnt lgkmcnt(0)
	v_add_f32_e32 v4, v7, v6
	v_mov_b32_e32 v9, s3
	v_cndmask_b32_e32 v4, v4, v1, vcc
	v_add_co_u32_e32 v0, vcc, s2, v2
	v_addc_co_u32_e32 v1, vcc, v9, v3, vcc
	global_store_dword v[0:1], v4, off
	s_endpgm
	.section	.rodata,"a",@progbits
	.p2align	6, 0x0
	.amdhsa_kernel _Z33head_segmented_warp_reduce_kernelIfhLj64ELj16EENSt9enable_ifIXsr10test_utilsE35device_test_enabled_for_warp_size_vIXT2_EEEvE4typeEPT_PT0_S4_
		.amdhsa_group_segment_fixed_size 0
		.amdhsa_private_segment_fixed_size 0
		.amdhsa_kernarg_size 280
		.amdhsa_user_sgpr_count 6
		.amdhsa_user_sgpr_private_segment_buffer 1
		.amdhsa_user_sgpr_dispatch_ptr 0
		.amdhsa_user_sgpr_queue_ptr 0
		.amdhsa_user_sgpr_kernarg_segment_ptr 1
		.amdhsa_user_sgpr_dispatch_id 0
		.amdhsa_user_sgpr_flat_scratch_init 0
		.amdhsa_user_sgpr_kernarg_preload_length 0
		.amdhsa_user_sgpr_kernarg_preload_offset 0
		.amdhsa_user_sgpr_private_segment_size 0
		.amdhsa_uses_dynamic_stack 0
		.amdhsa_system_sgpr_private_segment_wavefront_offset 0
		.amdhsa_system_sgpr_workgroup_id_x 1
		.amdhsa_system_sgpr_workgroup_id_y 0
		.amdhsa_system_sgpr_workgroup_id_z 0
		.amdhsa_system_sgpr_workgroup_info 0
		.amdhsa_system_vgpr_workitem_id 0
		.amdhsa_next_free_vgpr 13
		.amdhsa_next_free_sgpr 12
		.amdhsa_accum_offset 16
		.amdhsa_reserve_vcc 1
		.amdhsa_reserve_flat_scratch 0
		.amdhsa_float_round_mode_32 0
		.amdhsa_float_round_mode_16_64 0
		.amdhsa_float_denorm_mode_32 3
		.amdhsa_float_denorm_mode_16_64 3
		.amdhsa_dx10_clamp 1
		.amdhsa_ieee_mode 1
		.amdhsa_fp16_overflow 0
		.amdhsa_tg_split 0
		.amdhsa_exception_fp_ieee_invalid_op 0
		.amdhsa_exception_fp_denorm_src 0
		.amdhsa_exception_fp_ieee_div_zero 0
		.amdhsa_exception_fp_ieee_overflow 0
		.amdhsa_exception_fp_ieee_underflow 0
		.amdhsa_exception_fp_ieee_inexact 0
		.amdhsa_exception_int_div_zero 0
	.end_amdhsa_kernel
	.section	.text._Z33head_segmented_warp_reduce_kernelIfhLj64ELj16EENSt9enable_ifIXsr10test_utilsE35device_test_enabled_for_warp_size_vIXT2_EEEvE4typeEPT_PT0_S4_,"axG",@progbits,_Z33head_segmented_warp_reduce_kernelIfhLj64ELj16EENSt9enable_ifIXsr10test_utilsE35device_test_enabled_for_warp_size_vIXT2_EEEvE4typeEPT_PT0_S4_,comdat
.Lfunc_end172:
	.size	_Z33head_segmented_warp_reduce_kernelIfhLj64ELj16EENSt9enable_ifIXsr10test_utilsE35device_test_enabled_for_warp_size_vIXT2_EEEvE4typeEPT_PT0_S4_, .Lfunc_end172-_Z33head_segmented_warp_reduce_kernelIfhLj64ELj16EENSt9enable_ifIXsr10test_utilsE35device_test_enabled_for_warp_size_vIXT2_EEEvE4typeEPT_PT0_S4_
                                        ; -- End function
	.section	.AMDGPU.csdata,"",@progbits
; Kernel info:
; codeLenInByte = 428
; NumSgprs: 16
; NumVgprs: 13
; NumAgprs: 0
; TotalNumVgprs: 13
; ScratchSize: 0
; MemoryBound: 0
; FloatMode: 240
; IeeeMode: 1
; LDSByteSize: 0 bytes/workgroup (compile time only)
; SGPRBlocks: 1
; VGPRBlocks: 1
; NumSGPRsForWavesPerEU: 16
; NumVGPRsForWavesPerEU: 13
; AccumOffset: 16
; Occupancy: 8
; WaveLimiterHint : 0
; COMPUTE_PGM_RSRC2:SCRATCH_EN: 0
; COMPUTE_PGM_RSRC2:USER_SGPR: 6
; COMPUTE_PGM_RSRC2:TRAP_HANDLER: 0
; COMPUTE_PGM_RSRC2:TGID_X_EN: 1
; COMPUTE_PGM_RSRC2:TGID_Y_EN: 0
; COMPUTE_PGM_RSRC2:TGID_Z_EN: 0
; COMPUTE_PGM_RSRC2:TIDIG_COMP_CNT: 0
; COMPUTE_PGM_RSRC3_GFX90A:ACCUM_OFFSET: 3
; COMPUTE_PGM_RSRC3_GFX90A:TG_SPLIT: 0
	.section	.text._Z33head_segmented_warp_reduce_kernelIfhLj32ELj8EENSt9enable_ifIXsr10test_utilsE35device_test_enabled_for_warp_size_vIXT2_EEEvE4typeEPT_PT0_S4_,"axG",@progbits,_Z33head_segmented_warp_reduce_kernelIfhLj32ELj8EENSt9enable_ifIXsr10test_utilsE35device_test_enabled_for_warp_size_vIXT2_EEEvE4typeEPT_PT0_S4_,comdat
	.protected	_Z33head_segmented_warp_reduce_kernelIfhLj32ELj8EENSt9enable_ifIXsr10test_utilsE35device_test_enabled_for_warp_size_vIXT2_EEEvE4typeEPT_PT0_S4_ ; -- Begin function _Z33head_segmented_warp_reduce_kernelIfhLj32ELj8EENSt9enable_ifIXsr10test_utilsE35device_test_enabled_for_warp_size_vIXT2_EEEvE4typeEPT_PT0_S4_
	.globl	_Z33head_segmented_warp_reduce_kernelIfhLj32ELj8EENSt9enable_ifIXsr10test_utilsE35device_test_enabled_for_warp_size_vIXT2_EEEvE4typeEPT_PT0_S4_
	.p2align	8
	.type	_Z33head_segmented_warp_reduce_kernelIfhLj32ELj8EENSt9enable_ifIXsr10test_utilsE35device_test_enabled_for_warp_size_vIXT2_EEEvE4typeEPT_PT0_S4_,@function
_Z33head_segmented_warp_reduce_kernelIfhLj32ELj8EENSt9enable_ifIXsr10test_utilsE35device_test_enabled_for_warp_size_vIXT2_EEEvE4typeEPT_PT0_S4_: ; @_Z33head_segmented_warp_reduce_kernelIfhLj32ELj8EENSt9enable_ifIXsr10test_utilsE35device_test_enabled_for_warp_size_vIXT2_EEEvE4typeEPT_PT0_S4_
; %bb.0:
	s_load_dword s7, s[4:5], 0x24
	s_load_dwordx4 s[0:3], s[4:5], 0x0
	s_load_dwordx2 s[8:9], s[4:5], 0x10
	v_mov_b32_e32 v1, 0
	s_waitcnt lgkmcnt(0)
	s_and_b32 s4, s7, 0xffff
	s_mul_i32 s6, s6, s4
	v_add_u32_e32 v0, s6, v0
	v_lshlrev_b64 v[2:3], 2, v[0:1]
	v_mov_b32_e32 v1, s1
	global_load_ubyte v4, v0, s[2:3]
	v_add_co_u32_e32 v0, vcc, s0, v2
	v_addc_co_u32_e32 v1, vcc, v1, v3, vcc
	global_load_dword v5, v[0:1], off
	v_mbcnt_lo_u32_b32 v0, -1, 0
	v_mbcnt_hi_u32_b32 v6, -1, v0
	v_and_b32_e32 v8, 7, v6
	v_cmp_ne_u32_e32 vcc, 7, v8
	v_addc_co_u32_e32 v9, vcc, 0, v6, vcc
	v_cmp_gt_u32_e32 vcc, 6, v8
	v_cndmask_b32_e64 v11, 0, 1, vcc
	v_lshlrev_b64 v[0:1], v6, -1
	v_lshlrev_b32_e32 v9, 2, v9
	v_and_b32_e32 v7, 0x78, v6
	v_lshlrev_b32_e32 v11, 1, v11
	v_add_lshl_u32 v11, v11, v6, 2
	v_add_u32_e32 v10, 2, v8
	s_waitcnt vmcnt(1)
	v_cmp_ne_u16_e32 vcc, 0, v4
	s_lshr_b64 s[0:1], vcc, 1
	v_and_b32_e32 v1, s1, v1
	v_and_b32_e32 v0, s0, v0
	v_lshrrev_b64 v[0:1], v7, v[0:1]
	s_waitcnt vmcnt(0)
	ds_bpermute_b32 v4, v9, v5
	v_or_b32_e32 v0, 0x80, v0
	v_ffbl_b32_e32 v1, v1
	v_add_u32_e32 v1, 32, v1
	v_ffbl_b32_e32 v0, v0
	v_min_u32_e32 v0, v0, v1
	s_waitcnt lgkmcnt(0)
	v_add_f32_e32 v1, v5, v4
	v_cmp_lt_u32_e32 vcc, v8, v0
	v_cndmask_b32_e32 v1, v5, v1, vcc
	ds_bpermute_b32 v4, v11, v1
	v_cmp_gt_u32_e64 s[0:1], 4, v8
	v_cndmask_b32_e64 v7, 0, 1, s[0:1]
	v_lshlrev_b32_e32 v7, 2, v7
	v_cmp_gt_u32_e64 s[0:1], v10, v0
	s_waitcnt lgkmcnt(0)
	v_add_f32_e32 v4, v1, v4
	v_add_lshl_u32 v6, v7, v6, 2
	v_cndmask_b32_e64 v1, v4, v1, s[0:1]
	ds_bpermute_b32 v4, v6, v1
	v_add_u32_e32 v6, 4, v8
	v_cndmask_b32_e32 v5, v5, v1, vcc
	v_cmp_gt_u32_e32 vcc, v6, v0
	v_mov_b32_e32 v7, s9
	s_waitcnt lgkmcnt(0)
	v_add_f32_e32 v1, v1, v4
	v_cndmask_b32_e32 v4, v1, v5, vcc
	v_add_co_u32_e32 v0, vcc, s8, v2
	v_addc_co_u32_e32 v1, vcc, v7, v3, vcc
	global_store_dword v[0:1], v4, off
	s_endpgm
	.section	.rodata,"a",@progbits
	.p2align	6, 0x0
	.amdhsa_kernel _Z33head_segmented_warp_reduce_kernelIfhLj32ELj8EENSt9enable_ifIXsr10test_utilsE35device_test_enabled_for_warp_size_vIXT2_EEEvE4typeEPT_PT0_S4_
		.amdhsa_group_segment_fixed_size 0
		.amdhsa_private_segment_fixed_size 0
		.amdhsa_kernarg_size 280
		.amdhsa_user_sgpr_count 6
		.amdhsa_user_sgpr_private_segment_buffer 1
		.amdhsa_user_sgpr_dispatch_ptr 0
		.amdhsa_user_sgpr_queue_ptr 0
		.amdhsa_user_sgpr_kernarg_segment_ptr 1
		.amdhsa_user_sgpr_dispatch_id 0
		.amdhsa_user_sgpr_flat_scratch_init 0
		.amdhsa_user_sgpr_kernarg_preload_length 0
		.amdhsa_user_sgpr_kernarg_preload_offset 0
		.amdhsa_user_sgpr_private_segment_size 0
		.amdhsa_uses_dynamic_stack 0
		.amdhsa_system_sgpr_private_segment_wavefront_offset 0
		.amdhsa_system_sgpr_workgroup_id_x 1
		.amdhsa_system_sgpr_workgroup_id_y 0
		.amdhsa_system_sgpr_workgroup_id_z 0
		.amdhsa_system_sgpr_workgroup_info 0
		.amdhsa_system_vgpr_workitem_id 0
		.amdhsa_next_free_vgpr 12
		.amdhsa_next_free_sgpr 10
		.amdhsa_accum_offset 12
		.amdhsa_reserve_vcc 1
		.amdhsa_reserve_flat_scratch 0
		.amdhsa_float_round_mode_32 0
		.amdhsa_float_round_mode_16_64 0
		.amdhsa_float_denorm_mode_32 3
		.amdhsa_float_denorm_mode_16_64 3
		.amdhsa_dx10_clamp 1
		.amdhsa_ieee_mode 1
		.amdhsa_fp16_overflow 0
		.amdhsa_tg_split 0
		.amdhsa_exception_fp_ieee_invalid_op 0
		.amdhsa_exception_fp_denorm_src 0
		.amdhsa_exception_fp_ieee_div_zero 0
		.amdhsa_exception_fp_ieee_overflow 0
		.amdhsa_exception_fp_ieee_underflow 0
		.amdhsa_exception_fp_ieee_inexact 0
		.amdhsa_exception_int_div_zero 0
	.end_amdhsa_kernel
	.section	.text._Z33head_segmented_warp_reduce_kernelIfhLj32ELj8EENSt9enable_ifIXsr10test_utilsE35device_test_enabled_for_warp_size_vIXT2_EEEvE4typeEPT_PT0_S4_,"axG",@progbits,_Z33head_segmented_warp_reduce_kernelIfhLj32ELj8EENSt9enable_ifIXsr10test_utilsE35device_test_enabled_for_warp_size_vIXT2_EEEvE4typeEPT_PT0_S4_,comdat
.Lfunc_end173:
	.size	_Z33head_segmented_warp_reduce_kernelIfhLj32ELj8EENSt9enable_ifIXsr10test_utilsE35device_test_enabled_for_warp_size_vIXT2_EEEvE4typeEPT_PT0_S4_, .Lfunc_end173-_Z33head_segmented_warp_reduce_kernelIfhLj32ELj8EENSt9enable_ifIXsr10test_utilsE35device_test_enabled_for_warp_size_vIXT2_EEEvE4typeEPT_PT0_S4_
                                        ; -- End function
	.section	.AMDGPU.csdata,"",@progbits
; Kernel info:
; codeLenInByte = 356
; NumSgprs: 14
; NumVgprs: 12
; NumAgprs: 0
; TotalNumVgprs: 12
; ScratchSize: 0
; MemoryBound: 0
; FloatMode: 240
; IeeeMode: 1
; LDSByteSize: 0 bytes/workgroup (compile time only)
; SGPRBlocks: 1
; VGPRBlocks: 1
; NumSGPRsForWavesPerEU: 14
; NumVGPRsForWavesPerEU: 12
; AccumOffset: 12
; Occupancy: 8
; WaveLimiterHint : 0
; COMPUTE_PGM_RSRC2:SCRATCH_EN: 0
; COMPUTE_PGM_RSRC2:USER_SGPR: 6
; COMPUTE_PGM_RSRC2:TRAP_HANDLER: 0
; COMPUTE_PGM_RSRC2:TGID_X_EN: 1
; COMPUTE_PGM_RSRC2:TGID_Y_EN: 0
; COMPUTE_PGM_RSRC2:TGID_Z_EN: 0
; COMPUTE_PGM_RSRC2:TIDIG_COMP_CNT: 0
; COMPUTE_PGM_RSRC3_GFX90A:ACCUM_OFFSET: 2
; COMPUTE_PGM_RSRC3_GFX90A:TG_SPLIT: 0
	.section	.text._Z33head_segmented_warp_reduce_kernelIfhLj64ELj8EENSt9enable_ifIXsr10test_utilsE35device_test_enabled_for_warp_size_vIXT2_EEEvE4typeEPT_PT0_S4_,"axG",@progbits,_Z33head_segmented_warp_reduce_kernelIfhLj64ELj8EENSt9enable_ifIXsr10test_utilsE35device_test_enabled_for_warp_size_vIXT2_EEEvE4typeEPT_PT0_S4_,comdat
	.protected	_Z33head_segmented_warp_reduce_kernelIfhLj64ELj8EENSt9enable_ifIXsr10test_utilsE35device_test_enabled_for_warp_size_vIXT2_EEEvE4typeEPT_PT0_S4_ ; -- Begin function _Z33head_segmented_warp_reduce_kernelIfhLj64ELj8EENSt9enable_ifIXsr10test_utilsE35device_test_enabled_for_warp_size_vIXT2_EEEvE4typeEPT_PT0_S4_
	.globl	_Z33head_segmented_warp_reduce_kernelIfhLj64ELj8EENSt9enable_ifIXsr10test_utilsE35device_test_enabled_for_warp_size_vIXT2_EEEvE4typeEPT_PT0_S4_
	.p2align	8
	.type	_Z33head_segmented_warp_reduce_kernelIfhLj64ELj8EENSt9enable_ifIXsr10test_utilsE35device_test_enabled_for_warp_size_vIXT2_EEEvE4typeEPT_PT0_S4_,@function
_Z33head_segmented_warp_reduce_kernelIfhLj64ELj8EENSt9enable_ifIXsr10test_utilsE35device_test_enabled_for_warp_size_vIXT2_EEEvE4typeEPT_PT0_S4_: ; @_Z33head_segmented_warp_reduce_kernelIfhLj64ELj8EENSt9enable_ifIXsr10test_utilsE35device_test_enabled_for_warp_size_vIXT2_EEEvE4typeEPT_PT0_S4_
; %bb.0:
	s_load_dword s7, s[4:5], 0x24
	s_load_dwordx4 s[0:3], s[4:5], 0x0
	s_load_dwordx2 s[8:9], s[4:5], 0x10
	v_mov_b32_e32 v1, 0
	s_waitcnt lgkmcnt(0)
	s_and_b32 s4, s7, 0xffff
	s_mul_i32 s6, s6, s4
	v_add_u32_e32 v0, s6, v0
	v_lshlrev_b64 v[2:3], 2, v[0:1]
	v_mov_b32_e32 v1, s1
	global_load_ubyte v4, v0, s[2:3]
	v_add_co_u32_e32 v0, vcc, s0, v2
	v_addc_co_u32_e32 v1, vcc, v1, v3, vcc
	global_load_dword v5, v[0:1], off
	v_mbcnt_lo_u32_b32 v0, -1, 0
	v_mbcnt_hi_u32_b32 v6, -1, v0
	v_and_b32_e32 v8, 7, v6
	v_cmp_ne_u32_e32 vcc, 7, v8
	v_addc_co_u32_e32 v9, vcc, 0, v6, vcc
	v_cmp_gt_u32_e32 vcc, 6, v8
	v_cndmask_b32_e64 v11, 0, 1, vcc
	v_lshlrev_b64 v[0:1], v6, -1
	v_lshlrev_b32_e32 v9, 2, v9
	v_and_b32_e32 v7, 0x78, v6
	v_lshlrev_b32_e32 v11, 1, v11
	v_add_lshl_u32 v11, v11, v6, 2
	v_add_u32_e32 v10, 2, v8
	s_waitcnt vmcnt(1)
	v_cmp_ne_u16_e32 vcc, 0, v4
	s_lshr_b64 s[0:1], vcc, 1
	v_and_b32_e32 v1, s1, v1
	v_and_b32_e32 v0, s0, v0
	v_lshrrev_b64 v[0:1], v7, v[0:1]
	s_waitcnt vmcnt(0)
	ds_bpermute_b32 v4, v9, v5
	v_or_b32_e32 v0, 0x80, v0
	v_ffbl_b32_e32 v1, v1
	v_add_u32_e32 v1, 32, v1
	v_ffbl_b32_e32 v0, v0
	v_min_u32_e32 v0, v0, v1
	s_waitcnt lgkmcnt(0)
	v_add_f32_e32 v1, v5, v4
	v_cmp_lt_u32_e32 vcc, v8, v0
	v_cndmask_b32_e32 v1, v5, v1, vcc
	ds_bpermute_b32 v4, v11, v1
	v_cmp_gt_u32_e64 s[0:1], 4, v8
	v_cndmask_b32_e64 v7, 0, 1, s[0:1]
	v_lshlrev_b32_e32 v7, 2, v7
	v_cmp_gt_u32_e64 s[0:1], v10, v0
	s_waitcnt lgkmcnt(0)
	v_add_f32_e32 v4, v1, v4
	v_add_lshl_u32 v6, v7, v6, 2
	v_cndmask_b32_e64 v1, v4, v1, s[0:1]
	ds_bpermute_b32 v4, v6, v1
	v_add_u32_e32 v6, 4, v8
	v_cndmask_b32_e32 v5, v5, v1, vcc
	v_cmp_gt_u32_e32 vcc, v6, v0
	v_mov_b32_e32 v7, s9
	s_waitcnt lgkmcnt(0)
	v_add_f32_e32 v1, v1, v4
	v_cndmask_b32_e32 v4, v1, v5, vcc
	v_add_co_u32_e32 v0, vcc, s8, v2
	v_addc_co_u32_e32 v1, vcc, v7, v3, vcc
	global_store_dword v[0:1], v4, off
	s_endpgm
	.section	.rodata,"a",@progbits
	.p2align	6, 0x0
	.amdhsa_kernel _Z33head_segmented_warp_reduce_kernelIfhLj64ELj8EENSt9enable_ifIXsr10test_utilsE35device_test_enabled_for_warp_size_vIXT2_EEEvE4typeEPT_PT0_S4_
		.amdhsa_group_segment_fixed_size 0
		.amdhsa_private_segment_fixed_size 0
		.amdhsa_kernarg_size 280
		.amdhsa_user_sgpr_count 6
		.amdhsa_user_sgpr_private_segment_buffer 1
		.amdhsa_user_sgpr_dispatch_ptr 0
		.amdhsa_user_sgpr_queue_ptr 0
		.amdhsa_user_sgpr_kernarg_segment_ptr 1
		.amdhsa_user_sgpr_dispatch_id 0
		.amdhsa_user_sgpr_flat_scratch_init 0
		.amdhsa_user_sgpr_kernarg_preload_length 0
		.amdhsa_user_sgpr_kernarg_preload_offset 0
		.amdhsa_user_sgpr_private_segment_size 0
		.amdhsa_uses_dynamic_stack 0
		.amdhsa_system_sgpr_private_segment_wavefront_offset 0
		.amdhsa_system_sgpr_workgroup_id_x 1
		.amdhsa_system_sgpr_workgroup_id_y 0
		.amdhsa_system_sgpr_workgroup_id_z 0
		.amdhsa_system_sgpr_workgroup_info 0
		.amdhsa_system_vgpr_workitem_id 0
		.amdhsa_next_free_vgpr 12
		.amdhsa_next_free_sgpr 10
		.amdhsa_accum_offset 12
		.amdhsa_reserve_vcc 1
		.amdhsa_reserve_flat_scratch 0
		.amdhsa_float_round_mode_32 0
		.amdhsa_float_round_mode_16_64 0
		.amdhsa_float_denorm_mode_32 3
		.amdhsa_float_denorm_mode_16_64 3
		.amdhsa_dx10_clamp 1
		.amdhsa_ieee_mode 1
		.amdhsa_fp16_overflow 0
		.amdhsa_tg_split 0
		.amdhsa_exception_fp_ieee_invalid_op 0
		.amdhsa_exception_fp_denorm_src 0
		.amdhsa_exception_fp_ieee_div_zero 0
		.amdhsa_exception_fp_ieee_overflow 0
		.amdhsa_exception_fp_ieee_underflow 0
		.amdhsa_exception_fp_ieee_inexact 0
		.amdhsa_exception_int_div_zero 0
	.end_amdhsa_kernel
	.section	.text._Z33head_segmented_warp_reduce_kernelIfhLj64ELj8EENSt9enable_ifIXsr10test_utilsE35device_test_enabled_for_warp_size_vIXT2_EEEvE4typeEPT_PT0_S4_,"axG",@progbits,_Z33head_segmented_warp_reduce_kernelIfhLj64ELj8EENSt9enable_ifIXsr10test_utilsE35device_test_enabled_for_warp_size_vIXT2_EEEvE4typeEPT_PT0_S4_,comdat
.Lfunc_end174:
	.size	_Z33head_segmented_warp_reduce_kernelIfhLj64ELj8EENSt9enable_ifIXsr10test_utilsE35device_test_enabled_for_warp_size_vIXT2_EEEvE4typeEPT_PT0_S4_, .Lfunc_end174-_Z33head_segmented_warp_reduce_kernelIfhLj64ELj8EENSt9enable_ifIXsr10test_utilsE35device_test_enabled_for_warp_size_vIXT2_EEEvE4typeEPT_PT0_S4_
                                        ; -- End function
	.section	.AMDGPU.csdata,"",@progbits
; Kernel info:
; codeLenInByte = 356
; NumSgprs: 14
; NumVgprs: 12
; NumAgprs: 0
; TotalNumVgprs: 12
; ScratchSize: 0
; MemoryBound: 0
; FloatMode: 240
; IeeeMode: 1
; LDSByteSize: 0 bytes/workgroup (compile time only)
; SGPRBlocks: 1
; VGPRBlocks: 1
; NumSGPRsForWavesPerEU: 14
; NumVGPRsForWavesPerEU: 12
; AccumOffset: 12
; Occupancy: 8
; WaveLimiterHint : 0
; COMPUTE_PGM_RSRC2:SCRATCH_EN: 0
; COMPUTE_PGM_RSRC2:USER_SGPR: 6
; COMPUTE_PGM_RSRC2:TRAP_HANDLER: 0
; COMPUTE_PGM_RSRC2:TGID_X_EN: 1
; COMPUTE_PGM_RSRC2:TGID_Y_EN: 0
; COMPUTE_PGM_RSRC2:TGID_Z_EN: 0
; COMPUTE_PGM_RSRC2:TIDIG_COMP_CNT: 0
; COMPUTE_PGM_RSRC3_GFX90A:ACCUM_OFFSET: 2
; COMPUTE_PGM_RSRC3_GFX90A:TG_SPLIT: 0
	.section	.text._Z33head_segmented_warp_reduce_kernelIfhLj32ELj4EENSt9enable_ifIXsr10test_utilsE35device_test_enabled_for_warp_size_vIXT2_EEEvE4typeEPT_PT0_S4_,"axG",@progbits,_Z33head_segmented_warp_reduce_kernelIfhLj32ELj4EENSt9enable_ifIXsr10test_utilsE35device_test_enabled_for_warp_size_vIXT2_EEEvE4typeEPT_PT0_S4_,comdat
	.protected	_Z33head_segmented_warp_reduce_kernelIfhLj32ELj4EENSt9enable_ifIXsr10test_utilsE35device_test_enabled_for_warp_size_vIXT2_EEEvE4typeEPT_PT0_S4_ ; -- Begin function _Z33head_segmented_warp_reduce_kernelIfhLj32ELj4EENSt9enable_ifIXsr10test_utilsE35device_test_enabled_for_warp_size_vIXT2_EEEvE4typeEPT_PT0_S4_
	.globl	_Z33head_segmented_warp_reduce_kernelIfhLj32ELj4EENSt9enable_ifIXsr10test_utilsE35device_test_enabled_for_warp_size_vIXT2_EEEvE4typeEPT_PT0_S4_
	.p2align	8
	.type	_Z33head_segmented_warp_reduce_kernelIfhLj32ELj4EENSt9enable_ifIXsr10test_utilsE35device_test_enabled_for_warp_size_vIXT2_EEEvE4typeEPT_PT0_S4_,@function
_Z33head_segmented_warp_reduce_kernelIfhLj32ELj4EENSt9enable_ifIXsr10test_utilsE35device_test_enabled_for_warp_size_vIXT2_EEEvE4typeEPT_PT0_S4_: ; @_Z33head_segmented_warp_reduce_kernelIfhLj32ELj4EENSt9enable_ifIXsr10test_utilsE35device_test_enabled_for_warp_size_vIXT2_EEEvE4typeEPT_PT0_S4_
; %bb.0:
	s_load_dword s7, s[4:5], 0x24
	s_load_dwordx4 s[0:3], s[4:5], 0x0
	s_load_dwordx2 s[8:9], s[4:5], 0x10
	v_mov_b32_e32 v1, 0
	s_waitcnt lgkmcnt(0)
	s_and_b32 s4, s7, 0xffff
	s_mul_i32 s6, s6, s4
	v_add_u32_e32 v0, s6, v0
	v_lshlrev_b64 v[2:3], 2, v[0:1]
	v_mov_b32_e32 v1, s1
	global_load_ubyte v4, v0, s[2:3]
	v_add_co_u32_e32 v0, vcc, s0, v2
	v_addc_co_u32_e32 v1, vcc, v1, v3, vcc
	global_load_dword v5, v[0:1], off
	v_mbcnt_lo_u32_b32 v0, -1, 0
	v_mbcnt_hi_u32_b32 v6, -1, v0
	v_and_b32_e32 v8, 3, v6
	v_cmp_ne_u32_e32 vcc, 3, v8
	v_addc_co_u32_e32 v9, vcc, 0, v6, vcc
	v_cmp_gt_u32_e32 vcc, 2, v8
	v_cndmask_b32_e64 v10, 0, 1, vcc
	v_lshlrev_b64 v[0:1], v6, -1
	v_lshlrev_b32_e32 v9, 2, v9
	v_and_b32_e32 v7, 0x7c, v6
	v_lshlrev_b32_e32 v10, 1, v10
	v_add_lshl_u32 v6, v10, v6, 2
	s_waitcnt vmcnt(1)
	v_cmp_ne_u16_e32 vcc, 0, v4
	s_lshr_b64 s[0:1], vcc, 1
	v_and_b32_e32 v1, s1, v1
	v_and_b32_e32 v0, s0, v0
	v_lshrrev_b64 v[0:1], v7, v[0:1]
	s_waitcnt vmcnt(0)
	ds_bpermute_b32 v4, v9, v5
	v_or_b32_e32 v0, 8, v0
	v_ffbl_b32_e32 v1, v1
	v_add_u32_e32 v1, 32, v1
	v_ffbl_b32_e32 v0, v0
	v_min_u32_e32 v0, v0, v1
	s_waitcnt lgkmcnt(0)
	v_add_f32_e32 v1, v5, v4
	v_cmp_lt_u32_e32 vcc, v8, v0
	v_cndmask_b32_e32 v1, v5, v1, vcc
	ds_bpermute_b32 v4, v6, v1
	v_add_u32_e32 v6, 2, v8
	v_cmp_gt_u32_e64 s[0:1], v6, v0
	v_mov_b32_e32 v7, s9
	s_waitcnt lgkmcnt(0)
	v_add_f32_e32 v4, v1, v4
	v_cndmask_b32_e64 v0, v4, v1, s[0:1]
	v_cndmask_b32_e32 v4, v5, v0, vcc
	v_add_co_u32_e32 v0, vcc, s8, v2
	v_addc_co_u32_e32 v1, vcc, v7, v3, vcc
	global_store_dword v[0:1], v4, off
	s_endpgm
	.section	.rodata,"a",@progbits
	.p2align	6, 0x0
	.amdhsa_kernel _Z33head_segmented_warp_reduce_kernelIfhLj32ELj4EENSt9enable_ifIXsr10test_utilsE35device_test_enabled_for_warp_size_vIXT2_EEEvE4typeEPT_PT0_S4_
		.amdhsa_group_segment_fixed_size 0
		.amdhsa_private_segment_fixed_size 0
		.amdhsa_kernarg_size 280
		.amdhsa_user_sgpr_count 6
		.amdhsa_user_sgpr_private_segment_buffer 1
		.amdhsa_user_sgpr_dispatch_ptr 0
		.amdhsa_user_sgpr_queue_ptr 0
		.amdhsa_user_sgpr_kernarg_segment_ptr 1
		.amdhsa_user_sgpr_dispatch_id 0
		.amdhsa_user_sgpr_flat_scratch_init 0
		.amdhsa_user_sgpr_kernarg_preload_length 0
		.amdhsa_user_sgpr_kernarg_preload_offset 0
		.amdhsa_user_sgpr_private_segment_size 0
		.amdhsa_uses_dynamic_stack 0
		.amdhsa_system_sgpr_private_segment_wavefront_offset 0
		.amdhsa_system_sgpr_workgroup_id_x 1
		.amdhsa_system_sgpr_workgroup_id_y 0
		.amdhsa_system_sgpr_workgroup_id_z 0
		.amdhsa_system_sgpr_workgroup_info 0
		.amdhsa_system_vgpr_workitem_id 0
		.amdhsa_next_free_vgpr 11
		.amdhsa_next_free_sgpr 10
		.amdhsa_accum_offset 12
		.amdhsa_reserve_vcc 1
		.amdhsa_reserve_flat_scratch 0
		.amdhsa_float_round_mode_32 0
		.amdhsa_float_round_mode_16_64 0
		.amdhsa_float_denorm_mode_32 3
		.amdhsa_float_denorm_mode_16_64 3
		.amdhsa_dx10_clamp 1
		.amdhsa_ieee_mode 1
		.amdhsa_fp16_overflow 0
		.amdhsa_tg_split 0
		.amdhsa_exception_fp_ieee_invalid_op 0
		.amdhsa_exception_fp_denorm_src 0
		.amdhsa_exception_fp_ieee_div_zero 0
		.amdhsa_exception_fp_ieee_overflow 0
		.amdhsa_exception_fp_ieee_underflow 0
		.amdhsa_exception_fp_ieee_inexact 0
		.amdhsa_exception_int_div_zero 0
	.end_amdhsa_kernel
	.section	.text._Z33head_segmented_warp_reduce_kernelIfhLj32ELj4EENSt9enable_ifIXsr10test_utilsE35device_test_enabled_for_warp_size_vIXT2_EEEvE4typeEPT_PT0_S4_,"axG",@progbits,_Z33head_segmented_warp_reduce_kernelIfhLj32ELj4EENSt9enable_ifIXsr10test_utilsE35device_test_enabled_for_warp_size_vIXT2_EEEvE4typeEPT_PT0_S4_,comdat
.Lfunc_end175:
	.size	_Z33head_segmented_warp_reduce_kernelIfhLj32ELj4EENSt9enable_ifIXsr10test_utilsE35device_test_enabled_for_warp_size_vIXT2_EEEvE4typeEPT_PT0_S4_, .Lfunc_end175-_Z33head_segmented_warp_reduce_kernelIfhLj32ELj4EENSt9enable_ifIXsr10test_utilsE35device_test_enabled_for_warp_size_vIXT2_EEEvE4typeEPT_PT0_S4_
                                        ; -- End function
	.section	.AMDGPU.csdata,"",@progbits
; Kernel info:
; codeLenInByte = 296
; NumSgprs: 14
; NumVgprs: 11
; NumAgprs: 0
; TotalNumVgprs: 11
; ScratchSize: 0
; MemoryBound: 0
; FloatMode: 240
; IeeeMode: 1
; LDSByteSize: 0 bytes/workgroup (compile time only)
; SGPRBlocks: 1
; VGPRBlocks: 1
; NumSGPRsForWavesPerEU: 14
; NumVGPRsForWavesPerEU: 11
; AccumOffset: 12
; Occupancy: 8
; WaveLimiterHint : 0
; COMPUTE_PGM_RSRC2:SCRATCH_EN: 0
; COMPUTE_PGM_RSRC2:USER_SGPR: 6
; COMPUTE_PGM_RSRC2:TRAP_HANDLER: 0
; COMPUTE_PGM_RSRC2:TGID_X_EN: 1
; COMPUTE_PGM_RSRC2:TGID_Y_EN: 0
; COMPUTE_PGM_RSRC2:TGID_Z_EN: 0
; COMPUTE_PGM_RSRC2:TIDIG_COMP_CNT: 0
; COMPUTE_PGM_RSRC3_GFX90A:ACCUM_OFFSET: 2
; COMPUTE_PGM_RSRC3_GFX90A:TG_SPLIT: 0
	.section	.text._Z33head_segmented_warp_reduce_kernelIfhLj64ELj4EENSt9enable_ifIXsr10test_utilsE35device_test_enabled_for_warp_size_vIXT2_EEEvE4typeEPT_PT0_S4_,"axG",@progbits,_Z33head_segmented_warp_reduce_kernelIfhLj64ELj4EENSt9enable_ifIXsr10test_utilsE35device_test_enabled_for_warp_size_vIXT2_EEEvE4typeEPT_PT0_S4_,comdat
	.protected	_Z33head_segmented_warp_reduce_kernelIfhLj64ELj4EENSt9enable_ifIXsr10test_utilsE35device_test_enabled_for_warp_size_vIXT2_EEEvE4typeEPT_PT0_S4_ ; -- Begin function _Z33head_segmented_warp_reduce_kernelIfhLj64ELj4EENSt9enable_ifIXsr10test_utilsE35device_test_enabled_for_warp_size_vIXT2_EEEvE4typeEPT_PT0_S4_
	.globl	_Z33head_segmented_warp_reduce_kernelIfhLj64ELj4EENSt9enable_ifIXsr10test_utilsE35device_test_enabled_for_warp_size_vIXT2_EEEvE4typeEPT_PT0_S4_
	.p2align	8
	.type	_Z33head_segmented_warp_reduce_kernelIfhLj64ELj4EENSt9enable_ifIXsr10test_utilsE35device_test_enabled_for_warp_size_vIXT2_EEEvE4typeEPT_PT0_S4_,@function
_Z33head_segmented_warp_reduce_kernelIfhLj64ELj4EENSt9enable_ifIXsr10test_utilsE35device_test_enabled_for_warp_size_vIXT2_EEEvE4typeEPT_PT0_S4_: ; @_Z33head_segmented_warp_reduce_kernelIfhLj64ELj4EENSt9enable_ifIXsr10test_utilsE35device_test_enabled_for_warp_size_vIXT2_EEEvE4typeEPT_PT0_S4_
; %bb.0:
	s_load_dword s7, s[4:5], 0x24
	s_load_dwordx4 s[0:3], s[4:5], 0x0
	s_load_dwordx2 s[8:9], s[4:5], 0x10
	v_mov_b32_e32 v1, 0
	s_waitcnt lgkmcnt(0)
	s_and_b32 s4, s7, 0xffff
	s_mul_i32 s6, s6, s4
	v_add_u32_e32 v0, s6, v0
	v_lshlrev_b64 v[2:3], 2, v[0:1]
	v_mov_b32_e32 v1, s1
	global_load_ubyte v4, v0, s[2:3]
	v_add_co_u32_e32 v0, vcc, s0, v2
	v_addc_co_u32_e32 v1, vcc, v1, v3, vcc
	global_load_dword v5, v[0:1], off
	v_mbcnt_lo_u32_b32 v0, -1, 0
	v_mbcnt_hi_u32_b32 v6, -1, v0
	v_and_b32_e32 v8, 3, v6
	v_cmp_ne_u32_e32 vcc, 3, v8
	v_addc_co_u32_e32 v9, vcc, 0, v6, vcc
	v_cmp_gt_u32_e32 vcc, 2, v8
	v_cndmask_b32_e64 v10, 0, 1, vcc
	v_lshlrev_b64 v[0:1], v6, -1
	v_lshlrev_b32_e32 v9, 2, v9
	v_and_b32_e32 v7, 0x7c, v6
	v_lshlrev_b32_e32 v10, 1, v10
	v_add_lshl_u32 v6, v10, v6, 2
	s_waitcnt vmcnt(1)
	v_cmp_ne_u16_e32 vcc, 0, v4
	s_lshr_b64 s[0:1], vcc, 1
	v_and_b32_e32 v1, s1, v1
	v_and_b32_e32 v0, s0, v0
	v_lshrrev_b64 v[0:1], v7, v[0:1]
	s_waitcnt vmcnt(0)
	ds_bpermute_b32 v4, v9, v5
	v_or_b32_e32 v0, 8, v0
	v_ffbl_b32_e32 v1, v1
	v_add_u32_e32 v1, 32, v1
	v_ffbl_b32_e32 v0, v0
	v_min_u32_e32 v0, v0, v1
	s_waitcnt lgkmcnt(0)
	v_add_f32_e32 v1, v5, v4
	v_cmp_lt_u32_e32 vcc, v8, v0
	v_cndmask_b32_e32 v1, v5, v1, vcc
	ds_bpermute_b32 v4, v6, v1
	v_add_u32_e32 v6, 2, v8
	v_cmp_gt_u32_e64 s[0:1], v6, v0
	v_mov_b32_e32 v7, s9
	s_waitcnt lgkmcnt(0)
	v_add_f32_e32 v4, v1, v4
	v_cndmask_b32_e64 v0, v4, v1, s[0:1]
	v_cndmask_b32_e32 v4, v5, v0, vcc
	v_add_co_u32_e32 v0, vcc, s8, v2
	v_addc_co_u32_e32 v1, vcc, v7, v3, vcc
	global_store_dword v[0:1], v4, off
	s_endpgm
	.section	.rodata,"a",@progbits
	.p2align	6, 0x0
	.amdhsa_kernel _Z33head_segmented_warp_reduce_kernelIfhLj64ELj4EENSt9enable_ifIXsr10test_utilsE35device_test_enabled_for_warp_size_vIXT2_EEEvE4typeEPT_PT0_S4_
		.amdhsa_group_segment_fixed_size 0
		.amdhsa_private_segment_fixed_size 0
		.amdhsa_kernarg_size 280
		.amdhsa_user_sgpr_count 6
		.amdhsa_user_sgpr_private_segment_buffer 1
		.amdhsa_user_sgpr_dispatch_ptr 0
		.amdhsa_user_sgpr_queue_ptr 0
		.amdhsa_user_sgpr_kernarg_segment_ptr 1
		.amdhsa_user_sgpr_dispatch_id 0
		.amdhsa_user_sgpr_flat_scratch_init 0
		.amdhsa_user_sgpr_kernarg_preload_length 0
		.amdhsa_user_sgpr_kernarg_preload_offset 0
		.amdhsa_user_sgpr_private_segment_size 0
		.amdhsa_uses_dynamic_stack 0
		.amdhsa_system_sgpr_private_segment_wavefront_offset 0
		.amdhsa_system_sgpr_workgroup_id_x 1
		.amdhsa_system_sgpr_workgroup_id_y 0
		.amdhsa_system_sgpr_workgroup_id_z 0
		.amdhsa_system_sgpr_workgroup_info 0
		.amdhsa_system_vgpr_workitem_id 0
		.amdhsa_next_free_vgpr 11
		.amdhsa_next_free_sgpr 10
		.amdhsa_accum_offset 12
		.amdhsa_reserve_vcc 1
		.amdhsa_reserve_flat_scratch 0
		.amdhsa_float_round_mode_32 0
		.amdhsa_float_round_mode_16_64 0
		.amdhsa_float_denorm_mode_32 3
		.amdhsa_float_denorm_mode_16_64 3
		.amdhsa_dx10_clamp 1
		.amdhsa_ieee_mode 1
		.amdhsa_fp16_overflow 0
		.amdhsa_tg_split 0
		.amdhsa_exception_fp_ieee_invalid_op 0
		.amdhsa_exception_fp_denorm_src 0
		.amdhsa_exception_fp_ieee_div_zero 0
		.amdhsa_exception_fp_ieee_overflow 0
		.amdhsa_exception_fp_ieee_underflow 0
		.amdhsa_exception_fp_ieee_inexact 0
		.amdhsa_exception_int_div_zero 0
	.end_amdhsa_kernel
	.section	.text._Z33head_segmented_warp_reduce_kernelIfhLj64ELj4EENSt9enable_ifIXsr10test_utilsE35device_test_enabled_for_warp_size_vIXT2_EEEvE4typeEPT_PT0_S4_,"axG",@progbits,_Z33head_segmented_warp_reduce_kernelIfhLj64ELj4EENSt9enable_ifIXsr10test_utilsE35device_test_enabled_for_warp_size_vIXT2_EEEvE4typeEPT_PT0_S4_,comdat
.Lfunc_end176:
	.size	_Z33head_segmented_warp_reduce_kernelIfhLj64ELj4EENSt9enable_ifIXsr10test_utilsE35device_test_enabled_for_warp_size_vIXT2_EEEvE4typeEPT_PT0_S4_, .Lfunc_end176-_Z33head_segmented_warp_reduce_kernelIfhLj64ELj4EENSt9enable_ifIXsr10test_utilsE35device_test_enabled_for_warp_size_vIXT2_EEEvE4typeEPT_PT0_S4_
                                        ; -- End function
	.section	.AMDGPU.csdata,"",@progbits
; Kernel info:
; codeLenInByte = 296
; NumSgprs: 14
; NumVgprs: 11
; NumAgprs: 0
; TotalNumVgprs: 11
; ScratchSize: 0
; MemoryBound: 0
; FloatMode: 240
; IeeeMode: 1
; LDSByteSize: 0 bytes/workgroup (compile time only)
; SGPRBlocks: 1
; VGPRBlocks: 1
; NumSGPRsForWavesPerEU: 14
; NumVGPRsForWavesPerEU: 11
; AccumOffset: 12
; Occupancy: 8
; WaveLimiterHint : 0
; COMPUTE_PGM_RSRC2:SCRATCH_EN: 0
; COMPUTE_PGM_RSRC2:USER_SGPR: 6
; COMPUTE_PGM_RSRC2:TRAP_HANDLER: 0
; COMPUTE_PGM_RSRC2:TGID_X_EN: 1
; COMPUTE_PGM_RSRC2:TGID_Y_EN: 0
; COMPUTE_PGM_RSRC2:TGID_Z_EN: 0
; COMPUTE_PGM_RSRC2:TIDIG_COMP_CNT: 0
; COMPUTE_PGM_RSRC3_GFX90A:ACCUM_OFFSET: 2
; COMPUTE_PGM_RSRC3_GFX90A:TG_SPLIT: 0
	.section	.text._Z33head_segmented_warp_reduce_kernelIfhLj32ELj2EENSt9enable_ifIXsr10test_utilsE35device_test_enabled_for_warp_size_vIXT2_EEEvE4typeEPT_PT0_S4_,"axG",@progbits,_Z33head_segmented_warp_reduce_kernelIfhLj32ELj2EENSt9enable_ifIXsr10test_utilsE35device_test_enabled_for_warp_size_vIXT2_EEEvE4typeEPT_PT0_S4_,comdat
	.protected	_Z33head_segmented_warp_reduce_kernelIfhLj32ELj2EENSt9enable_ifIXsr10test_utilsE35device_test_enabled_for_warp_size_vIXT2_EEEvE4typeEPT_PT0_S4_ ; -- Begin function _Z33head_segmented_warp_reduce_kernelIfhLj32ELj2EENSt9enable_ifIXsr10test_utilsE35device_test_enabled_for_warp_size_vIXT2_EEEvE4typeEPT_PT0_S4_
	.globl	_Z33head_segmented_warp_reduce_kernelIfhLj32ELj2EENSt9enable_ifIXsr10test_utilsE35device_test_enabled_for_warp_size_vIXT2_EEEvE4typeEPT_PT0_S4_
	.p2align	8
	.type	_Z33head_segmented_warp_reduce_kernelIfhLj32ELj2EENSt9enable_ifIXsr10test_utilsE35device_test_enabled_for_warp_size_vIXT2_EEEvE4typeEPT_PT0_S4_,@function
_Z33head_segmented_warp_reduce_kernelIfhLj32ELj2EENSt9enable_ifIXsr10test_utilsE35device_test_enabled_for_warp_size_vIXT2_EEEvE4typeEPT_PT0_S4_: ; @_Z33head_segmented_warp_reduce_kernelIfhLj32ELj2EENSt9enable_ifIXsr10test_utilsE35device_test_enabled_for_warp_size_vIXT2_EEEvE4typeEPT_PT0_S4_
; %bb.0:
	s_load_dword s7, s[4:5], 0x24
	s_load_dwordx4 s[0:3], s[4:5], 0x0
	s_load_dwordx2 s[8:9], s[4:5], 0x10
	v_mov_b32_e32 v1, 0
	s_waitcnt lgkmcnt(0)
	s_and_b32 s4, s7, 0xffff
	s_mul_i32 s6, s6, s4
	v_add_u32_e32 v0, s6, v0
	v_lshlrev_b64 v[2:3], 2, v[0:1]
	v_mov_b32_e32 v1, s1
	global_load_ubyte v4, v0, s[2:3]
	v_add_co_u32_e32 v0, vcc, s0, v2
	v_addc_co_u32_e32 v1, vcc, v1, v3, vcc
	global_load_dword v5, v[0:1], off
	v_mbcnt_lo_u32_b32 v0, -1, 0
	v_mbcnt_hi_u32_b32 v6, -1, v0
	v_lshlrev_b64 v[0:1], v6, -1
	v_and_b32_e32 v7, 0x7e, v6
	v_and_b32_e32 v8, 1, v6
	v_lshl_or_b32 v6, v6, 2, 4
	v_mov_b32_e32 v9, s9
	s_waitcnt vmcnt(1)
	v_cmp_ne_u16_e32 vcc, 0, v4
	s_lshr_b64 s[0:1], vcc, 1
	v_and_b32_e32 v1, s1, v1
	v_and_b32_e32 v0, s0, v0
	v_lshrrev_b64 v[0:1], v7, v[0:1]
	s_waitcnt vmcnt(0)
	ds_bpermute_b32 v4, v6, v5
	v_or_b32_e32 v0, 2, v0
	v_ffbl_b32_e32 v1, v1
	v_add_u32_e32 v1, 32, v1
	v_ffbl_b32_e32 v0, v0
	v_min_u32_e32 v0, v0, v1
	s_waitcnt lgkmcnt(0)
	v_add_f32_e32 v1, v5, v4
	v_cmp_lt_u32_e32 vcc, v8, v0
	v_cndmask_b32_e32 v4, v5, v1, vcc
	v_add_co_u32_e32 v0, vcc, s8, v2
	v_addc_co_u32_e32 v1, vcc, v9, v3, vcc
	global_store_dword v[0:1], v4, off
	s_endpgm
	.section	.rodata,"a",@progbits
	.p2align	6, 0x0
	.amdhsa_kernel _Z33head_segmented_warp_reduce_kernelIfhLj32ELj2EENSt9enable_ifIXsr10test_utilsE35device_test_enabled_for_warp_size_vIXT2_EEEvE4typeEPT_PT0_S4_
		.amdhsa_group_segment_fixed_size 0
		.amdhsa_private_segment_fixed_size 0
		.amdhsa_kernarg_size 280
		.amdhsa_user_sgpr_count 6
		.amdhsa_user_sgpr_private_segment_buffer 1
		.amdhsa_user_sgpr_dispatch_ptr 0
		.amdhsa_user_sgpr_queue_ptr 0
		.amdhsa_user_sgpr_kernarg_segment_ptr 1
		.amdhsa_user_sgpr_dispatch_id 0
		.amdhsa_user_sgpr_flat_scratch_init 0
		.amdhsa_user_sgpr_kernarg_preload_length 0
		.amdhsa_user_sgpr_kernarg_preload_offset 0
		.amdhsa_user_sgpr_private_segment_size 0
		.amdhsa_uses_dynamic_stack 0
		.amdhsa_system_sgpr_private_segment_wavefront_offset 0
		.amdhsa_system_sgpr_workgroup_id_x 1
		.amdhsa_system_sgpr_workgroup_id_y 0
		.amdhsa_system_sgpr_workgroup_id_z 0
		.amdhsa_system_sgpr_workgroup_info 0
		.amdhsa_system_vgpr_workitem_id 0
		.amdhsa_next_free_vgpr 10
		.amdhsa_next_free_sgpr 10
		.amdhsa_accum_offset 12
		.amdhsa_reserve_vcc 1
		.amdhsa_reserve_flat_scratch 0
		.amdhsa_float_round_mode_32 0
		.amdhsa_float_round_mode_16_64 0
		.amdhsa_float_denorm_mode_32 3
		.amdhsa_float_denorm_mode_16_64 3
		.amdhsa_dx10_clamp 1
		.amdhsa_ieee_mode 1
		.amdhsa_fp16_overflow 0
		.amdhsa_tg_split 0
		.amdhsa_exception_fp_ieee_invalid_op 0
		.amdhsa_exception_fp_denorm_src 0
		.amdhsa_exception_fp_ieee_div_zero 0
		.amdhsa_exception_fp_ieee_overflow 0
		.amdhsa_exception_fp_ieee_underflow 0
		.amdhsa_exception_fp_ieee_inexact 0
		.amdhsa_exception_int_div_zero 0
	.end_amdhsa_kernel
	.section	.text._Z33head_segmented_warp_reduce_kernelIfhLj32ELj2EENSt9enable_ifIXsr10test_utilsE35device_test_enabled_for_warp_size_vIXT2_EEEvE4typeEPT_PT0_S4_,"axG",@progbits,_Z33head_segmented_warp_reduce_kernelIfhLj32ELj2EENSt9enable_ifIXsr10test_utilsE35device_test_enabled_for_warp_size_vIXT2_EEEvE4typeEPT_PT0_S4_,comdat
.Lfunc_end177:
	.size	_Z33head_segmented_warp_reduce_kernelIfhLj32ELj2EENSt9enable_ifIXsr10test_utilsE35device_test_enabled_for_warp_size_vIXT2_EEEvE4typeEPT_PT0_S4_, .Lfunc_end177-_Z33head_segmented_warp_reduce_kernelIfhLj32ELj2EENSt9enable_ifIXsr10test_utilsE35device_test_enabled_for_warp_size_vIXT2_EEEvE4typeEPT_PT0_S4_
                                        ; -- End function
	.section	.AMDGPU.csdata,"",@progbits
; Kernel info:
; codeLenInByte = 228
; NumSgprs: 14
; NumVgprs: 10
; NumAgprs: 0
; TotalNumVgprs: 10
; ScratchSize: 0
; MemoryBound: 0
; FloatMode: 240
; IeeeMode: 1
; LDSByteSize: 0 bytes/workgroup (compile time only)
; SGPRBlocks: 1
; VGPRBlocks: 1
; NumSGPRsForWavesPerEU: 14
; NumVGPRsForWavesPerEU: 10
; AccumOffset: 12
; Occupancy: 8
; WaveLimiterHint : 0
; COMPUTE_PGM_RSRC2:SCRATCH_EN: 0
; COMPUTE_PGM_RSRC2:USER_SGPR: 6
; COMPUTE_PGM_RSRC2:TRAP_HANDLER: 0
; COMPUTE_PGM_RSRC2:TGID_X_EN: 1
; COMPUTE_PGM_RSRC2:TGID_Y_EN: 0
; COMPUTE_PGM_RSRC2:TGID_Z_EN: 0
; COMPUTE_PGM_RSRC2:TIDIG_COMP_CNT: 0
; COMPUTE_PGM_RSRC3_GFX90A:ACCUM_OFFSET: 2
; COMPUTE_PGM_RSRC3_GFX90A:TG_SPLIT: 0
	.section	.text._Z33head_segmented_warp_reduce_kernelIfhLj64ELj2EENSt9enable_ifIXsr10test_utilsE35device_test_enabled_for_warp_size_vIXT2_EEEvE4typeEPT_PT0_S4_,"axG",@progbits,_Z33head_segmented_warp_reduce_kernelIfhLj64ELj2EENSt9enable_ifIXsr10test_utilsE35device_test_enabled_for_warp_size_vIXT2_EEEvE4typeEPT_PT0_S4_,comdat
	.protected	_Z33head_segmented_warp_reduce_kernelIfhLj64ELj2EENSt9enable_ifIXsr10test_utilsE35device_test_enabled_for_warp_size_vIXT2_EEEvE4typeEPT_PT0_S4_ ; -- Begin function _Z33head_segmented_warp_reduce_kernelIfhLj64ELj2EENSt9enable_ifIXsr10test_utilsE35device_test_enabled_for_warp_size_vIXT2_EEEvE4typeEPT_PT0_S4_
	.globl	_Z33head_segmented_warp_reduce_kernelIfhLj64ELj2EENSt9enable_ifIXsr10test_utilsE35device_test_enabled_for_warp_size_vIXT2_EEEvE4typeEPT_PT0_S4_
	.p2align	8
	.type	_Z33head_segmented_warp_reduce_kernelIfhLj64ELj2EENSt9enable_ifIXsr10test_utilsE35device_test_enabled_for_warp_size_vIXT2_EEEvE4typeEPT_PT0_S4_,@function
_Z33head_segmented_warp_reduce_kernelIfhLj64ELj2EENSt9enable_ifIXsr10test_utilsE35device_test_enabled_for_warp_size_vIXT2_EEEvE4typeEPT_PT0_S4_: ; @_Z33head_segmented_warp_reduce_kernelIfhLj64ELj2EENSt9enable_ifIXsr10test_utilsE35device_test_enabled_for_warp_size_vIXT2_EEEvE4typeEPT_PT0_S4_
; %bb.0:
	s_load_dword s7, s[4:5], 0x24
	s_load_dwordx4 s[0:3], s[4:5], 0x0
	s_load_dwordx2 s[8:9], s[4:5], 0x10
	v_mov_b32_e32 v1, 0
	s_waitcnt lgkmcnt(0)
	s_and_b32 s4, s7, 0xffff
	s_mul_i32 s6, s6, s4
	v_add_u32_e32 v0, s6, v0
	v_lshlrev_b64 v[2:3], 2, v[0:1]
	v_mov_b32_e32 v1, s1
	global_load_ubyte v4, v0, s[2:3]
	v_add_co_u32_e32 v0, vcc, s0, v2
	v_addc_co_u32_e32 v1, vcc, v1, v3, vcc
	global_load_dword v5, v[0:1], off
	v_mbcnt_lo_u32_b32 v0, -1, 0
	v_mbcnt_hi_u32_b32 v6, -1, v0
	v_lshlrev_b64 v[0:1], v6, -1
	v_and_b32_e32 v7, 0x7e, v6
	v_and_b32_e32 v8, 1, v6
	v_lshl_or_b32 v6, v6, 2, 4
	v_mov_b32_e32 v9, s9
	s_waitcnt vmcnt(1)
	v_cmp_ne_u16_e32 vcc, 0, v4
	s_lshr_b64 s[0:1], vcc, 1
	v_and_b32_e32 v1, s1, v1
	v_and_b32_e32 v0, s0, v0
	v_lshrrev_b64 v[0:1], v7, v[0:1]
	s_waitcnt vmcnt(0)
	ds_bpermute_b32 v4, v6, v5
	v_or_b32_e32 v0, 2, v0
	v_ffbl_b32_e32 v1, v1
	v_add_u32_e32 v1, 32, v1
	v_ffbl_b32_e32 v0, v0
	v_min_u32_e32 v0, v0, v1
	s_waitcnt lgkmcnt(0)
	v_add_f32_e32 v1, v5, v4
	v_cmp_lt_u32_e32 vcc, v8, v0
	v_cndmask_b32_e32 v4, v5, v1, vcc
	v_add_co_u32_e32 v0, vcc, s8, v2
	v_addc_co_u32_e32 v1, vcc, v9, v3, vcc
	global_store_dword v[0:1], v4, off
	s_endpgm
	.section	.rodata,"a",@progbits
	.p2align	6, 0x0
	.amdhsa_kernel _Z33head_segmented_warp_reduce_kernelIfhLj64ELj2EENSt9enable_ifIXsr10test_utilsE35device_test_enabled_for_warp_size_vIXT2_EEEvE4typeEPT_PT0_S4_
		.amdhsa_group_segment_fixed_size 0
		.amdhsa_private_segment_fixed_size 0
		.amdhsa_kernarg_size 280
		.amdhsa_user_sgpr_count 6
		.amdhsa_user_sgpr_private_segment_buffer 1
		.amdhsa_user_sgpr_dispatch_ptr 0
		.amdhsa_user_sgpr_queue_ptr 0
		.amdhsa_user_sgpr_kernarg_segment_ptr 1
		.amdhsa_user_sgpr_dispatch_id 0
		.amdhsa_user_sgpr_flat_scratch_init 0
		.amdhsa_user_sgpr_kernarg_preload_length 0
		.amdhsa_user_sgpr_kernarg_preload_offset 0
		.amdhsa_user_sgpr_private_segment_size 0
		.amdhsa_uses_dynamic_stack 0
		.amdhsa_system_sgpr_private_segment_wavefront_offset 0
		.amdhsa_system_sgpr_workgroup_id_x 1
		.amdhsa_system_sgpr_workgroup_id_y 0
		.amdhsa_system_sgpr_workgroup_id_z 0
		.amdhsa_system_sgpr_workgroup_info 0
		.amdhsa_system_vgpr_workitem_id 0
		.amdhsa_next_free_vgpr 10
		.amdhsa_next_free_sgpr 10
		.amdhsa_accum_offset 12
		.amdhsa_reserve_vcc 1
		.amdhsa_reserve_flat_scratch 0
		.amdhsa_float_round_mode_32 0
		.amdhsa_float_round_mode_16_64 0
		.amdhsa_float_denorm_mode_32 3
		.amdhsa_float_denorm_mode_16_64 3
		.amdhsa_dx10_clamp 1
		.amdhsa_ieee_mode 1
		.amdhsa_fp16_overflow 0
		.amdhsa_tg_split 0
		.amdhsa_exception_fp_ieee_invalid_op 0
		.amdhsa_exception_fp_denorm_src 0
		.amdhsa_exception_fp_ieee_div_zero 0
		.amdhsa_exception_fp_ieee_overflow 0
		.amdhsa_exception_fp_ieee_underflow 0
		.amdhsa_exception_fp_ieee_inexact 0
		.amdhsa_exception_int_div_zero 0
	.end_amdhsa_kernel
	.section	.text._Z33head_segmented_warp_reduce_kernelIfhLj64ELj2EENSt9enable_ifIXsr10test_utilsE35device_test_enabled_for_warp_size_vIXT2_EEEvE4typeEPT_PT0_S4_,"axG",@progbits,_Z33head_segmented_warp_reduce_kernelIfhLj64ELj2EENSt9enable_ifIXsr10test_utilsE35device_test_enabled_for_warp_size_vIXT2_EEEvE4typeEPT_PT0_S4_,comdat
.Lfunc_end178:
	.size	_Z33head_segmented_warp_reduce_kernelIfhLj64ELj2EENSt9enable_ifIXsr10test_utilsE35device_test_enabled_for_warp_size_vIXT2_EEEvE4typeEPT_PT0_S4_, .Lfunc_end178-_Z33head_segmented_warp_reduce_kernelIfhLj64ELj2EENSt9enable_ifIXsr10test_utilsE35device_test_enabled_for_warp_size_vIXT2_EEEvE4typeEPT_PT0_S4_
                                        ; -- End function
	.section	.AMDGPU.csdata,"",@progbits
; Kernel info:
; codeLenInByte = 228
; NumSgprs: 14
; NumVgprs: 10
; NumAgprs: 0
; TotalNumVgprs: 10
; ScratchSize: 0
; MemoryBound: 0
; FloatMode: 240
; IeeeMode: 1
; LDSByteSize: 0 bytes/workgroup (compile time only)
; SGPRBlocks: 1
; VGPRBlocks: 1
; NumSGPRsForWavesPerEU: 14
; NumVGPRsForWavesPerEU: 10
; AccumOffset: 12
; Occupancy: 8
; WaveLimiterHint : 0
; COMPUTE_PGM_RSRC2:SCRATCH_EN: 0
; COMPUTE_PGM_RSRC2:USER_SGPR: 6
; COMPUTE_PGM_RSRC2:TRAP_HANDLER: 0
; COMPUTE_PGM_RSRC2:TGID_X_EN: 1
; COMPUTE_PGM_RSRC2:TGID_Y_EN: 0
; COMPUTE_PGM_RSRC2:TGID_Z_EN: 0
; COMPUTE_PGM_RSRC2:TIDIG_COMP_CNT: 0
; COMPUTE_PGM_RSRC3_GFX90A:ACCUM_OFFSET: 2
; COMPUTE_PGM_RSRC3_GFX90A:TG_SPLIT: 0
	.section	.text._Z33head_segmented_warp_reduce_kernelIfhLj32ELj1EENSt9enable_ifIXsr10test_utilsE35device_test_enabled_for_warp_size_vIXT2_EEEvE4typeEPT_PT0_S4_,"axG",@progbits,_Z33head_segmented_warp_reduce_kernelIfhLj32ELj1EENSt9enable_ifIXsr10test_utilsE35device_test_enabled_for_warp_size_vIXT2_EEEvE4typeEPT_PT0_S4_,comdat
	.protected	_Z33head_segmented_warp_reduce_kernelIfhLj32ELj1EENSt9enable_ifIXsr10test_utilsE35device_test_enabled_for_warp_size_vIXT2_EEEvE4typeEPT_PT0_S4_ ; -- Begin function _Z33head_segmented_warp_reduce_kernelIfhLj32ELj1EENSt9enable_ifIXsr10test_utilsE35device_test_enabled_for_warp_size_vIXT2_EEEvE4typeEPT_PT0_S4_
	.globl	_Z33head_segmented_warp_reduce_kernelIfhLj32ELj1EENSt9enable_ifIXsr10test_utilsE35device_test_enabled_for_warp_size_vIXT2_EEEvE4typeEPT_PT0_S4_
	.p2align	8
	.type	_Z33head_segmented_warp_reduce_kernelIfhLj32ELj1EENSt9enable_ifIXsr10test_utilsE35device_test_enabled_for_warp_size_vIXT2_EEEvE4typeEPT_PT0_S4_,@function
_Z33head_segmented_warp_reduce_kernelIfhLj32ELj1EENSt9enable_ifIXsr10test_utilsE35device_test_enabled_for_warp_size_vIXT2_EEEvE4typeEPT_PT0_S4_: ; @_Z33head_segmented_warp_reduce_kernelIfhLj32ELj1EENSt9enable_ifIXsr10test_utilsE35device_test_enabled_for_warp_size_vIXT2_EEEvE4typeEPT_PT0_S4_
; %bb.0:
	s_load_dword s7, s[4:5], 0x24
	s_load_dwordx2 s[0:1], s[4:5], 0x0
	s_load_dwordx2 s[2:3], s[4:5], 0x10
	v_mov_b32_e32 v1, 0
	s_waitcnt lgkmcnt(0)
	s_and_b32 s4, s7, 0xffff
	s_mul_i32 s6, s6, s4
	v_add_u32_e32 v0, s6, v0
	v_lshlrev_b64 v[0:1], 2, v[0:1]
	v_mov_b32_e32 v3, s1
	v_add_co_u32_e32 v2, vcc, s0, v0
	v_addc_co_u32_e32 v3, vcc, v3, v1, vcc
	global_load_dword v2, v[2:3], off
	v_mov_b32_e32 v3, s3
	v_add_co_u32_e32 v0, vcc, s2, v0
	v_addc_co_u32_e32 v1, vcc, v3, v1, vcc
	s_waitcnt vmcnt(0)
	global_store_dword v[0:1], v2, off
	s_endpgm
	.section	.rodata,"a",@progbits
	.p2align	6, 0x0
	.amdhsa_kernel _Z33head_segmented_warp_reduce_kernelIfhLj32ELj1EENSt9enable_ifIXsr10test_utilsE35device_test_enabled_for_warp_size_vIXT2_EEEvE4typeEPT_PT0_S4_
		.amdhsa_group_segment_fixed_size 0
		.amdhsa_private_segment_fixed_size 0
		.amdhsa_kernarg_size 280
		.amdhsa_user_sgpr_count 6
		.amdhsa_user_sgpr_private_segment_buffer 1
		.amdhsa_user_sgpr_dispatch_ptr 0
		.amdhsa_user_sgpr_queue_ptr 0
		.amdhsa_user_sgpr_kernarg_segment_ptr 1
		.amdhsa_user_sgpr_dispatch_id 0
		.amdhsa_user_sgpr_flat_scratch_init 0
		.amdhsa_user_sgpr_kernarg_preload_length 0
		.amdhsa_user_sgpr_kernarg_preload_offset 0
		.amdhsa_user_sgpr_private_segment_size 0
		.amdhsa_uses_dynamic_stack 0
		.amdhsa_system_sgpr_private_segment_wavefront_offset 0
		.amdhsa_system_sgpr_workgroup_id_x 1
		.amdhsa_system_sgpr_workgroup_id_y 0
		.amdhsa_system_sgpr_workgroup_id_z 0
		.amdhsa_system_sgpr_workgroup_info 0
		.amdhsa_system_vgpr_workitem_id 0
		.amdhsa_next_free_vgpr 4
		.amdhsa_next_free_sgpr 8
		.amdhsa_accum_offset 4
		.amdhsa_reserve_vcc 1
		.amdhsa_reserve_flat_scratch 0
		.amdhsa_float_round_mode_32 0
		.amdhsa_float_round_mode_16_64 0
		.amdhsa_float_denorm_mode_32 3
		.amdhsa_float_denorm_mode_16_64 3
		.amdhsa_dx10_clamp 1
		.amdhsa_ieee_mode 1
		.amdhsa_fp16_overflow 0
		.amdhsa_tg_split 0
		.amdhsa_exception_fp_ieee_invalid_op 0
		.amdhsa_exception_fp_denorm_src 0
		.amdhsa_exception_fp_ieee_div_zero 0
		.amdhsa_exception_fp_ieee_overflow 0
		.amdhsa_exception_fp_ieee_underflow 0
		.amdhsa_exception_fp_ieee_inexact 0
		.amdhsa_exception_int_div_zero 0
	.end_amdhsa_kernel
	.section	.text._Z33head_segmented_warp_reduce_kernelIfhLj32ELj1EENSt9enable_ifIXsr10test_utilsE35device_test_enabled_for_warp_size_vIXT2_EEEvE4typeEPT_PT0_S4_,"axG",@progbits,_Z33head_segmented_warp_reduce_kernelIfhLj32ELj1EENSt9enable_ifIXsr10test_utilsE35device_test_enabled_for_warp_size_vIXT2_EEEvE4typeEPT_PT0_S4_,comdat
.Lfunc_end179:
	.size	_Z33head_segmented_warp_reduce_kernelIfhLj32ELj1EENSt9enable_ifIXsr10test_utilsE35device_test_enabled_for_warp_size_vIXT2_EEEvE4typeEPT_PT0_S4_, .Lfunc_end179-_Z33head_segmented_warp_reduce_kernelIfhLj32ELj1EENSt9enable_ifIXsr10test_utilsE35device_test_enabled_for_warp_size_vIXT2_EEEvE4typeEPT_PT0_S4_
                                        ; -- End function
	.section	.AMDGPU.csdata,"",@progbits
; Kernel info:
; codeLenInByte = 104
; NumSgprs: 12
; NumVgprs: 4
; NumAgprs: 0
; TotalNumVgprs: 4
; ScratchSize: 0
; MemoryBound: 0
; FloatMode: 240
; IeeeMode: 1
; LDSByteSize: 0 bytes/workgroup (compile time only)
; SGPRBlocks: 1
; VGPRBlocks: 0
; NumSGPRsForWavesPerEU: 12
; NumVGPRsForWavesPerEU: 4
; AccumOffset: 4
; Occupancy: 8
; WaveLimiterHint : 0
; COMPUTE_PGM_RSRC2:SCRATCH_EN: 0
; COMPUTE_PGM_RSRC2:USER_SGPR: 6
; COMPUTE_PGM_RSRC2:TRAP_HANDLER: 0
; COMPUTE_PGM_RSRC2:TGID_X_EN: 1
; COMPUTE_PGM_RSRC2:TGID_Y_EN: 0
; COMPUTE_PGM_RSRC2:TGID_Z_EN: 0
; COMPUTE_PGM_RSRC2:TIDIG_COMP_CNT: 0
; COMPUTE_PGM_RSRC3_GFX90A:ACCUM_OFFSET: 0
; COMPUTE_PGM_RSRC3_GFX90A:TG_SPLIT: 0
	.section	.text._Z33head_segmented_warp_reduce_kernelIfhLj64ELj1EENSt9enable_ifIXsr10test_utilsE35device_test_enabled_for_warp_size_vIXT2_EEEvE4typeEPT_PT0_S4_,"axG",@progbits,_Z33head_segmented_warp_reduce_kernelIfhLj64ELj1EENSt9enable_ifIXsr10test_utilsE35device_test_enabled_for_warp_size_vIXT2_EEEvE4typeEPT_PT0_S4_,comdat
	.protected	_Z33head_segmented_warp_reduce_kernelIfhLj64ELj1EENSt9enable_ifIXsr10test_utilsE35device_test_enabled_for_warp_size_vIXT2_EEEvE4typeEPT_PT0_S4_ ; -- Begin function _Z33head_segmented_warp_reduce_kernelIfhLj64ELj1EENSt9enable_ifIXsr10test_utilsE35device_test_enabled_for_warp_size_vIXT2_EEEvE4typeEPT_PT0_S4_
	.globl	_Z33head_segmented_warp_reduce_kernelIfhLj64ELj1EENSt9enable_ifIXsr10test_utilsE35device_test_enabled_for_warp_size_vIXT2_EEEvE4typeEPT_PT0_S4_
	.p2align	8
	.type	_Z33head_segmented_warp_reduce_kernelIfhLj64ELj1EENSt9enable_ifIXsr10test_utilsE35device_test_enabled_for_warp_size_vIXT2_EEEvE4typeEPT_PT0_S4_,@function
_Z33head_segmented_warp_reduce_kernelIfhLj64ELj1EENSt9enable_ifIXsr10test_utilsE35device_test_enabled_for_warp_size_vIXT2_EEEvE4typeEPT_PT0_S4_: ; @_Z33head_segmented_warp_reduce_kernelIfhLj64ELj1EENSt9enable_ifIXsr10test_utilsE35device_test_enabled_for_warp_size_vIXT2_EEEvE4typeEPT_PT0_S4_
; %bb.0:
	s_load_dword s7, s[4:5], 0x24
	s_load_dwordx2 s[0:1], s[4:5], 0x0
	s_load_dwordx2 s[2:3], s[4:5], 0x10
	v_mov_b32_e32 v1, 0
	s_waitcnt lgkmcnt(0)
	s_and_b32 s4, s7, 0xffff
	s_mul_i32 s6, s6, s4
	v_add_u32_e32 v0, s6, v0
	v_lshlrev_b64 v[0:1], 2, v[0:1]
	v_mov_b32_e32 v3, s1
	v_add_co_u32_e32 v2, vcc, s0, v0
	v_addc_co_u32_e32 v3, vcc, v3, v1, vcc
	global_load_dword v2, v[2:3], off
	v_mov_b32_e32 v3, s3
	v_add_co_u32_e32 v0, vcc, s2, v0
	v_addc_co_u32_e32 v1, vcc, v3, v1, vcc
	s_waitcnt vmcnt(0)
	global_store_dword v[0:1], v2, off
	s_endpgm
	.section	.rodata,"a",@progbits
	.p2align	6, 0x0
	.amdhsa_kernel _Z33head_segmented_warp_reduce_kernelIfhLj64ELj1EENSt9enable_ifIXsr10test_utilsE35device_test_enabled_for_warp_size_vIXT2_EEEvE4typeEPT_PT0_S4_
		.amdhsa_group_segment_fixed_size 0
		.amdhsa_private_segment_fixed_size 0
		.amdhsa_kernarg_size 280
		.amdhsa_user_sgpr_count 6
		.amdhsa_user_sgpr_private_segment_buffer 1
		.amdhsa_user_sgpr_dispatch_ptr 0
		.amdhsa_user_sgpr_queue_ptr 0
		.amdhsa_user_sgpr_kernarg_segment_ptr 1
		.amdhsa_user_sgpr_dispatch_id 0
		.amdhsa_user_sgpr_flat_scratch_init 0
		.amdhsa_user_sgpr_kernarg_preload_length 0
		.amdhsa_user_sgpr_kernarg_preload_offset 0
		.amdhsa_user_sgpr_private_segment_size 0
		.amdhsa_uses_dynamic_stack 0
		.amdhsa_system_sgpr_private_segment_wavefront_offset 0
		.amdhsa_system_sgpr_workgroup_id_x 1
		.amdhsa_system_sgpr_workgroup_id_y 0
		.amdhsa_system_sgpr_workgroup_id_z 0
		.amdhsa_system_sgpr_workgroup_info 0
		.amdhsa_system_vgpr_workitem_id 0
		.amdhsa_next_free_vgpr 4
		.amdhsa_next_free_sgpr 8
		.amdhsa_accum_offset 4
		.amdhsa_reserve_vcc 1
		.amdhsa_reserve_flat_scratch 0
		.amdhsa_float_round_mode_32 0
		.amdhsa_float_round_mode_16_64 0
		.amdhsa_float_denorm_mode_32 3
		.amdhsa_float_denorm_mode_16_64 3
		.amdhsa_dx10_clamp 1
		.amdhsa_ieee_mode 1
		.amdhsa_fp16_overflow 0
		.amdhsa_tg_split 0
		.amdhsa_exception_fp_ieee_invalid_op 0
		.amdhsa_exception_fp_denorm_src 0
		.amdhsa_exception_fp_ieee_div_zero 0
		.amdhsa_exception_fp_ieee_overflow 0
		.amdhsa_exception_fp_ieee_underflow 0
		.amdhsa_exception_fp_ieee_inexact 0
		.amdhsa_exception_int_div_zero 0
	.end_amdhsa_kernel
	.section	.text._Z33head_segmented_warp_reduce_kernelIfhLj64ELj1EENSt9enable_ifIXsr10test_utilsE35device_test_enabled_for_warp_size_vIXT2_EEEvE4typeEPT_PT0_S4_,"axG",@progbits,_Z33head_segmented_warp_reduce_kernelIfhLj64ELj1EENSt9enable_ifIXsr10test_utilsE35device_test_enabled_for_warp_size_vIXT2_EEEvE4typeEPT_PT0_S4_,comdat
.Lfunc_end180:
	.size	_Z33head_segmented_warp_reduce_kernelIfhLj64ELj1EENSt9enable_ifIXsr10test_utilsE35device_test_enabled_for_warp_size_vIXT2_EEEvE4typeEPT_PT0_S4_, .Lfunc_end180-_Z33head_segmented_warp_reduce_kernelIfhLj64ELj1EENSt9enable_ifIXsr10test_utilsE35device_test_enabled_for_warp_size_vIXT2_EEEvE4typeEPT_PT0_S4_
                                        ; -- End function
	.section	.AMDGPU.csdata,"",@progbits
; Kernel info:
; codeLenInByte = 104
; NumSgprs: 12
; NumVgprs: 4
; NumAgprs: 0
; TotalNumVgprs: 4
; ScratchSize: 0
; MemoryBound: 0
; FloatMode: 240
; IeeeMode: 1
; LDSByteSize: 0 bytes/workgroup (compile time only)
; SGPRBlocks: 1
; VGPRBlocks: 0
; NumSGPRsForWavesPerEU: 12
; NumVGPRsForWavesPerEU: 4
; AccumOffset: 4
; Occupancy: 8
; WaveLimiterHint : 0
; COMPUTE_PGM_RSRC2:SCRATCH_EN: 0
; COMPUTE_PGM_RSRC2:USER_SGPR: 6
; COMPUTE_PGM_RSRC2:TRAP_HANDLER: 0
; COMPUTE_PGM_RSRC2:TGID_X_EN: 1
; COMPUTE_PGM_RSRC2:TGID_Y_EN: 0
; COMPUTE_PGM_RSRC2:TGID_Z_EN: 0
; COMPUTE_PGM_RSRC2:TIDIG_COMP_CNT: 0
; COMPUTE_PGM_RSRC3_GFX90A:ACCUM_OFFSET: 0
; COMPUTE_PGM_RSRC3_GFX90A:TG_SPLIT: 0
	.section	.text._Z33head_segmented_warp_reduce_kernelIihLj256ELj64EENSt9enable_ifIXsr10test_utilsE35device_test_enabled_for_warp_size_vIXT2_EEEvE4typeEPT_PT0_S4_,"axG",@progbits,_Z33head_segmented_warp_reduce_kernelIihLj256ELj64EENSt9enable_ifIXsr10test_utilsE35device_test_enabled_for_warp_size_vIXT2_EEEvE4typeEPT_PT0_S4_,comdat
	.protected	_Z33head_segmented_warp_reduce_kernelIihLj256ELj64EENSt9enable_ifIXsr10test_utilsE35device_test_enabled_for_warp_size_vIXT2_EEEvE4typeEPT_PT0_S4_ ; -- Begin function _Z33head_segmented_warp_reduce_kernelIihLj256ELj64EENSt9enable_ifIXsr10test_utilsE35device_test_enabled_for_warp_size_vIXT2_EEEvE4typeEPT_PT0_S4_
	.globl	_Z33head_segmented_warp_reduce_kernelIihLj256ELj64EENSt9enable_ifIXsr10test_utilsE35device_test_enabled_for_warp_size_vIXT2_EEEvE4typeEPT_PT0_S4_
	.p2align	8
	.type	_Z33head_segmented_warp_reduce_kernelIihLj256ELj64EENSt9enable_ifIXsr10test_utilsE35device_test_enabled_for_warp_size_vIXT2_EEEvE4typeEPT_PT0_S4_,@function
_Z33head_segmented_warp_reduce_kernelIihLj256ELj64EENSt9enable_ifIXsr10test_utilsE35device_test_enabled_for_warp_size_vIXT2_EEEvE4typeEPT_PT0_S4_: ; @_Z33head_segmented_warp_reduce_kernelIihLj256ELj64EENSt9enable_ifIXsr10test_utilsE35device_test_enabled_for_warp_size_vIXT2_EEEvE4typeEPT_PT0_S4_
; %bb.0:
	s_load_dword s2, s[4:5], 0x24
	s_load_dwordx4 s[8:11], s[4:5], 0x0
	s_load_dwordx2 s[0:1], s[4:5], 0x10
	v_mov_b32_e32 v1, 0
	s_waitcnt lgkmcnt(0)
	s_and_b32 s2, s2, 0xffff
	s_mul_i32 s6, s6, s2
	v_add_u32_e32 v0, s6, v0
	v_lshlrev_b64 v[2:3], 2, v[0:1]
	global_load_ubyte v4, v0, s[10:11]
	v_mov_b32_e32 v1, s9
	v_add_co_u32_e32 v0, vcc, s8, v2
	v_addc_co_u32_e32 v1, vcc, v1, v3, vcc
	global_load_dword v5, v[0:1], off
	v_mbcnt_lo_u32_b32 v0, -1, 0
	v_mbcnt_hi_u32_b32 v6, -1, v0
	v_and_b32_e32 v7, 63, v6
	v_cmp_ne_u32_e32 vcc, 63, v7
	v_addc_co_u32_e32 v13, vcc, 0, v6, vcc
	v_cmp_gt_u32_e32 vcc, 62, v7
	v_cndmask_b32_e64 v14, 0, 1, vcc
	v_lshlrev_b64 v[0:1], v6, -1
	v_lshlrev_b32_e32 v13, 2, v13
	v_add_u32_e32 v8, 1, v6
	v_lshlrev_b32_e32 v14, 1, v14
	v_add_lshl_u32 v14, v14, v6, 2
	v_add_u32_e32 v9, 2, v6
	v_add_u32_e32 v10, 4, v6
	;; [unrolled: 1-line block ×4, first 2 shown]
	s_waitcnt vmcnt(1)
	v_cmp_ne_u16_e32 vcc, 0, v4
	s_lshr_b64 s[2:3], vcc, 1
	v_and_b32_e32 v1, s3, v1
	v_or_b32_e32 v1, 0x80000000, v1
	v_and_b32_e32 v0, s2, v0
	v_ffbl_b32_e32 v1, v1
	s_waitcnt vmcnt(0)
	ds_bpermute_b32 v4, v13, v5
	v_ffbl_b32_e32 v0, v0
	v_add_u32_e32 v1, 32, v1
	v_min_u32_e32 v0, v0, v1
	v_cmp_le_u32_e32 vcc, v8, v0
	s_waitcnt lgkmcnt(0)
	v_cndmask_b32_e32 v1, 0, v4, vcc
	v_add_u32_e32 v1, v1, v5
	ds_bpermute_b32 v4, v14, v1
	v_cmp_gt_u32_e32 vcc, 60, v7
	v_cndmask_b32_e64 v5, 0, 1, vcc
	v_cmp_le_u32_e32 vcc, v9, v0
	v_lshlrev_b32_e32 v5, 2, v5
	s_waitcnt lgkmcnt(0)
	v_cndmask_b32_e32 v4, 0, v4, vcc
	v_add_lshl_u32 v5, v5, v6, 2
	v_add_u32_e32 v1, v1, v4
	ds_bpermute_b32 v4, v5, v1
	v_cmp_gt_u32_e32 vcc, 56, v7
	v_cndmask_b32_e64 v5, 0, 1, vcc
	v_cmp_le_u32_e32 vcc, v10, v0
	v_lshlrev_b32_e32 v5, 3, v5
	s_waitcnt lgkmcnt(0)
	v_cndmask_b32_e32 v4, 0, v4, vcc
	v_add_lshl_u32 v5, v5, v6, 2
	;; [unrolled: 9-line block ×4, first 2 shown]
	v_add_u32_e32 v1, v1, v4
	ds_bpermute_b32 v4, v5, v1
	v_add_u32_e32 v5, 32, v6
	v_cmp_le_u32_e32 vcc, v5, v0
	v_mov_b32_e32 v6, s1
	s_waitcnt lgkmcnt(0)
	v_cndmask_b32_e32 v0, 0, v4, vcc
	v_add_u32_e32 v4, v1, v0
	v_add_co_u32_e32 v0, vcc, s0, v2
	v_addc_co_u32_e32 v1, vcc, v6, v3, vcc
	global_store_dword v[0:1], v4, off
	s_endpgm
	.section	.rodata,"a",@progbits
	.p2align	6, 0x0
	.amdhsa_kernel _Z33head_segmented_warp_reduce_kernelIihLj256ELj64EENSt9enable_ifIXsr10test_utilsE35device_test_enabled_for_warp_size_vIXT2_EEEvE4typeEPT_PT0_S4_
		.amdhsa_group_segment_fixed_size 0
		.amdhsa_private_segment_fixed_size 0
		.amdhsa_kernarg_size 280
		.amdhsa_user_sgpr_count 6
		.amdhsa_user_sgpr_private_segment_buffer 1
		.amdhsa_user_sgpr_dispatch_ptr 0
		.amdhsa_user_sgpr_queue_ptr 0
		.amdhsa_user_sgpr_kernarg_segment_ptr 1
		.amdhsa_user_sgpr_dispatch_id 0
		.amdhsa_user_sgpr_flat_scratch_init 0
		.amdhsa_user_sgpr_kernarg_preload_length 0
		.amdhsa_user_sgpr_kernarg_preload_offset 0
		.amdhsa_user_sgpr_private_segment_size 0
		.amdhsa_uses_dynamic_stack 0
		.amdhsa_system_sgpr_private_segment_wavefront_offset 0
		.amdhsa_system_sgpr_workgroup_id_x 1
		.amdhsa_system_sgpr_workgroup_id_y 0
		.amdhsa_system_sgpr_workgroup_id_z 0
		.amdhsa_system_sgpr_workgroup_info 0
		.amdhsa_system_vgpr_workitem_id 0
		.amdhsa_next_free_vgpr 15
		.amdhsa_next_free_sgpr 12
		.amdhsa_accum_offset 16
		.amdhsa_reserve_vcc 1
		.amdhsa_reserve_flat_scratch 0
		.amdhsa_float_round_mode_32 0
		.amdhsa_float_round_mode_16_64 0
		.amdhsa_float_denorm_mode_32 3
		.amdhsa_float_denorm_mode_16_64 3
		.amdhsa_dx10_clamp 1
		.amdhsa_ieee_mode 1
		.amdhsa_fp16_overflow 0
		.amdhsa_tg_split 0
		.amdhsa_exception_fp_ieee_invalid_op 0
		.amdhsa_exception_fp_denorm_src 0
		.amdhsa_exception_fp_ieee_div_zero 0
		.amdhsa_exception_fp_ieee_overflow 0
		.amdhsa_exception_fp_ieee_underflow 0
		.amdhsa_exception_fp_ieee_inexact 0
		.amdhsa_exception_int_div_zero 0
	.end_amdhsa_kernel
	.section	.text._Z33head_segmented_warp_reduce_kernelIihLj256ELj64EENSt9enable_ifIXsr10test_utilsE35device_test_enabled_for_warp_size_vIXT2_EEEvE4typeEPT_PT0_S4_,"axG",@progbits,_Z33head_segmented_warp_reduce_kernelIihLj256ELj64EENSt9enable_ifIXsr10test_utilsE35device_test_enabled_for_warp_size_vIXT2_EEEvE4typeEPT_PT0_S4_,comdat
.Lfunc_end181:
	.size	_Z33head_segmented_warp_reduce_kernelIihLj256ELj64EENSt9enable_ifIXsr10test_utilsE35device_test_enabled_for_warp_size_vIXT2_EEEvE4typeEPT_PT0_S4_, .Lfunc_end181-_Z33head_segmented_warp_reduce_kernelIihLj256ELj64EENSt9enable_ifIXsr10test_utilsE35device_test_enabled_for_warp_size_vIXT2_EEEvE4typeEPT_PT0_S4_
                                        ; -- End function
	.section	.AMDGPU.csdata,"",@progbits
; Kernel info:
; codeLenInByte = 484
; NumSgprs: 16
; NumVgprs: 15
; NumAgprs: 0
; TotalNumVgprs: 15
; ScratchSize: 0
; MemoryBound: 0
; FloatMode: 240
; IeeeMode: 1
; LDSByteSize: 0 bytes/workgroup (compile time only)
; SGPRBlocks: 1
; VGPRBlocks: 1
; NumSGPRsForWavesPerEU: 16
; NumVGPRsForWavesPerEU: 15
; AccumOffset: 16
; Occupancy: 8
; WaveLimiterHint : 0
; COMPUTE_PGM_RSRC2:SCRATCH_EN: 0
; COMPUTE_PGM_RSRC2:USER_SGPR: 6
; COMPUTE_PGM_RSRC2:TRAP_HANDLER: 0
; COMPUTE_PGM_RSRC2:TGID_X_EN: 1
; COMPUTE_PGM_RSRC2:TGID_Y_EN: 0
; COMPUTE_PGM_RSRC2:TGID_Z_EN: 0
; COMPUTE_PGM_RSRC2:TIDIG_COMP_CNT: 0
; COMPUTE_PGM_RSRC3_GFX90A:ACCUM_OFFSET: 3
; COMPUTE_PGM_RSRC3_GFX90A:TG_SPLIT: 0
	.section	.text._Z33head_segmented_warp_reduce_kernelIihLj128ELj32EENSt9enable_ifIXsr10test_utilsE35device_test_enabled_for_warp_size_vIXT2_EEEvE4typeEPT_PT0_S4_,"axG",@progbits,_Z33head_segmented_warp_reduce_kernelIihLj128ELj32EENSt9enable_ifIXsr10test_utilsE35device_test_enabled_for_warp_size_vIXT2_EEEvE4typeEPT_PT0_S4_,comdat
	.protected	_Z33head_segmented_warp_reduce_kernelIihLj128ELj32EENSt9enable_ifIXsr10test_utilsE35device_test_enabled_for_warp_size_vIXT2_EEEvE4typeEPT_PT0_S4_ ; -- Begin function _Z33head_segmented_warp_reduce_kernelIihLj128ELj32EENSt9enable_ifIXsr10test_utilsE35device_test_enabled_for_warp_size_vIXT2_EEEvE4typeEPT_PT0_S4_
	.globl	_Z33head_segmented_warp_reduce_kernelIihLj128ELj32EENSt9enable_ifIXsr10test_utilsE35device_test_enabled_for_warp_size_vIXT2_EEEvE4typeEPT_PT0_S4_
	.p2align	8
	.type	_Z33head_segmented_warp_reduce_kernelIihLj128ELj32EENSt9enable_ifIXsr10test_utilsE35device_test_enabled_for_warp_size_vIXT2_EEEvE4typeEPT_PT0_S4_,@function
_Z33head_segmented_warp_reduce_kernelIihLj128ELj32EENSt9enable_ifIXsr10test_utilsE35device_test_enabled_for_warp_size_vIXT2_EEEvE4typeEPT_PT0_S4_: ; @_Z33head_segmented_warp_reduce_kernelIihLj128ELj32EENSt9enable_ifIXsr10test_utilsE35device_test_enabled_for_warp_size_vIXT2_EEEvE4typeEPT_PT0_S4_
; %bb.0:
	s_load_dword s2, s[4:5], 0x24
	s_load_dwordx4 s[8:11], s[4:5], 0x0
	s_load_dwordx2 s[0:1], s[4:5], 0x10
	v_mov_b32_e32 v1, 0
	s_waitcnt lgkmcnt(0)
	s_and_b32 s2, s2, 0xffff
	s_mul_i32 s6, s6, s2
	v_add_u32_e32 v0, s6, v0
	v_lshlrev_b64 v[2:3], 2, v[0:1]
	global_load_ubyte v4, v0, s[10:11]
	v_mov_b32_e32 v1, s9
	v_add_co_u32_e32 v0, vcc, s8, v2
	v_addc_co_u32_e32 v1, vcc, v1, v3, vcc
	global_load_dword v5, v[0:1], off
	v_mbcnt_lo_u32_b32 v0, -1, 0
	v_mbcnt_hi_u32_b32 v6, -1, v0
	v_and_b32_e32 v8, 31, v6
	v_cmp_ne_u32_e32 vcc, 31, v8
	v_addc_co_u32_e32 v9, vcc, 0, v6, vcc
	v_cmp_gt_u32_e32 vcc, 30, v8
	v_cndmask_b32_e64 v11, 0, 1, vcc
	v_cmp_gt_u32_e32 vcc, 28, v8
	v_cndmask_b32_e64 v13, 0, 1, vcc
	v_lshlrev_b64 v[0:1], v6, -1
	v_and_b32_e32 v7, 0x60, v6
	v_lshlrev_b32_e32 v9, 2, v9
	v_lshlrev_b32_e32 v11, 1, v11
	v_add_lshl_u32 v11, v11, v6, 2
	v_add_u32_e32 v10, 2, v8
	v_add_u32_e32 v12, 4, v8
	s_waitcnt vmcnt(1)
	v_cmp_ne_u16_e32 vcc, 0, v4
	s_lshr_b64 s[2:3], vcc, 1
	v_and_b32_e32 v1, s3, v1
	v_and_b32_e32 v0, s2, v0
	v_lshrrev_b64 v[0:1], v7, v[0:1]
	v_or_b32_e32 v0, 0x80000000, v0
	s_waitcnt vmcnt(0)
	ds_bpermute_b32 v4, v9, v5
	v_ffbl_b32_e32 v1, v1
	v_add_u32_e32 v1, 32, v1
	v_ffbl_b32_e32 v0, v0
	v_min_u32_e32 v0, v0, v1
	v_cmp_lt_u32_e32 vcc, v8, v0
	s_waitcnt lgkmcnt(0)
	v_cndmask_b32_e32 v1, 0, v4, vcc
	v_add_u32_e32 v1, v1, v5
	ds_bpermute_b32 v4, v11, v1
	v_cmp_le_u32_e32 vcc, v10, v0
	v_lshlrev_b32_e32 v7, 2, v13
	v_add_lshl_u32 v7, v7, v6, 2
	v_add_u32_e32 v5, 8, v8
	s_waitcnt lgkmcnt(0)
	v_cndmask_b32_e32 v4, 0, v4, vcc
	v_add_u32_e32 v1, v1, v4
	ds_bpermute_b32 v4, v7, v1
	v_cmp_gt_u32_e32 vcc, 24, v8
	v_cndmask_b32_e64 v7, 0, 1, vcc
	v_cmp_le_u32_e32 vcc, v12, v0
	v_lshlrev_b32_e32 v7, 3, v7
	s_waitcnt lgkmcnt(0)
	v_cndmask_b32_e32 v4, 0, v4, vcc
	v_add_lshl_u32 v7, v7, v6, 2
	v_add_u32_e32 v1, v1, v4
	ds_bpermute_b32 v4, v7, v1
	v_cmp_gt_u32_e32 vcc, 16, v8
	v_cndmask_b32_e64 v7, 0, 1, vcc
	v_cmp_le_u32_e32 vcc, v5, v0
	v_lshlrev_b32_e32 v7, 4, v7
	s_waitcnt lgkmcnt(0)
	v_cndmask_b32_e32 v4, 0, v4, vcc
	v_add_lshl_u32 v6, v7, v6, 2
	v_add_u32_e32 v1, v1, v4
	ds_bpermute_b32 v4, v6, v1
	v_add_u32_e32 v5, 16, v8
	v_cmp_le_u32_e32 vcc, v5, v0
	v_mov_b32_e32 v6, s1
	s_waitcnt lgkmcnt(0)
	v_cndmask_b32_e32 v0, 0, v4, vcc
	v_add_u32_e32 v4, v1, v0
	v_add_co_u32_e32 v0, vcc, s0, v2
	v_addc_co_u32_e32 v1, vcc, v6, v3, vcc
	global_store_dword v[0:1], v4, off
	s_endpgm
	.section	.rodata,"a",@progbits
	.p2align	6, 0x0
	.amdhsa_kernel _Z33head_segmented_warp_reduce_kernelIihLj128ELj32EENSt9enable_ifIXsr10test_utilsE35device_test_enabled_for_warp_size_vIXT2_EEEvE4typeEPT_PT0_S4_
		.amdhsa_group_segment_fixed_size 0
		.amdhsa_private_segment_fixed_size 0
		.amdhsa_kernarg_size 280
		.amdhsa_user_sgpr_count 6
		.amdhsa_user_sgpr_private_segment_buffer 1
		.amdhsa_user_sgpr_dispatch_ptr 0
		.amdhsa_user_sgpr_queue_ptr 0
		.amdhsa_user_sgpr_kernarg_segment_ptr 1
		.amdhsa_user_sgpr_dispatch_id 0
		.amdhsa_user_sgpr_flat_scratch_init 0
		.amdhsa_user_sgpr_kernarg_preload_length 0
		.amdhsa_user_sgpr_kernarg_preload_offset 0
		.amdhsa_user_sgpr_private_segment_size 0
		.amdhsa_uses_dynamic_stack 0
		.amdhsa_system_sgpr_private_segment_wavefront_offset 0
		.amdhsa_system_sgpr_workgroup_id_x 1
		.amdhsa_system_sgpr_workgroup_id_y 0
		.amdhsa_system_sgpr_workgroup_id_z 0
		.amdhsa_system_sgpr_workgroup_info 0
		.amdhsa_system_vgpr_workitem_id 0
		.amdhsa_next_free_vgpr 14
		.amdhsa_next_free_sgpr 12
		.amdhsa_accum_offset 16
		.amdhsa_reserve_vcc 1
		.amdhsa_reserve_flat_scratch 0
		.amdhsa_float_round_mode_32 0
		.amdhsa_float_round_mode_16_64 0
		.amdhsa_float_denorm_mode_32 3
		.amdhsa_float_denorm_mode_16_64 3
		.amdhsa_dx10_clamp 1
		.amdhsa_ieee_mode 1
		.amdhsa_fp16_overflow 0
		.amdhsa_tg_split 0
		.amdhsa_exception_fp_ieee_invalid_op 0
		.amdhsa_exception_fp_denorm_src 0
		.amdhsa_exception_fp_ieee_div_zero 0
		.amdhsa_exception_fp_ieee_overflow 0
		.amdhsa_exception_fp_ieee_underflow 0
		.amdhsa_exception_fp_ieee_inexact 0
		.amdhsa_exception_int_div_zero 0
	.end_amdhsa_kernel
	.section	.text._Z33head_segmented_warp_reduce_kernelIihLj128ELj32EENSt9enable_ifIXsr10test_utilsE35device_test_enabled_for_warp_size_vIXT2_EEEvE4typeEPT_PT0_S4_,"axG",@progbits,_Z33head_segmented_warp_reduce_kernelIihLj128ELj32EENSt9enable_ifIXsr10test_utilsE35device_test_enabled_for_warp_size_vIXT2_EEEvE4typeEPT_PT0_S4_,comdat
.Lfunc_end182:
	.size	_Z33head_segmented_warp_reduce_kernelIihLj128ELj32EENSt9enable_ifIXsr10test_utilsE35device_test_enabled_for_warp_size_vIXT2_EEEvE4typeEPT_PT0_S4_, .Lfunc_end182-_Z33head_segmented_warp_reduce_kernelIihLj128ELj32EENSt9enable_ifIXsr10test_utilsE35device_test_enabled_for_warp_size_vIXT2_EEEvE4typeEPT_PT0_S4_
                                        ; -- End function
	.section	.AMDGPU.csdata,"",@progbits
; Kernel info:
; codeLenInByte = 444
; NumSgprs: 16
; NumVgprs: 14
; NumAgprs: 0
; TotalNumVgprs: 14
; ScratchSize: 0
; MemoryBound: 0
; FloatMode: 240
; IeeeMode: 1
; LDSByteSize: 0 bytes/workgroup (compile time only)
; SGPRBlocks: 1
; VGPRBlocks: 1
; NumSGPRsForWavesPerEU: 16
; NumVGPRsForWavesPerEU: 14
; AccumOffset: 16
; Occupancy: 8
; WaveLimiterHint : 0
; COMPUTE_PGM_RSRC2:SCRATCH_EN: 0
; COMPUTE_PGM_RSRC2:USER_SGPR: 6
; COMPUTE_PGM_RSRC2:TRAP_HANDLER: 0
; COMPUTE_PGM_RSRC2:TGID_X_EN: 1
; COMPUTE_PGM_RSRC2:TGID_Y_EN: 0
; COMPUTE_PGM_RSRC2:TGID_Z_EN: 0
; COMPUTE_PGM_RSRC2:TIDIG_COMP_CNT: 0
; COMPUTE_PGM_RSRC3_GFX90A:ACCUM_OFFSET: 3
; COMPUTE_PGM_RSRC3_GFX90A:TG_SPLIT: 0
	.section	.text._Z33head_segmented_warp_reduce_kernelIihLj64ELj16EENSt9enable_ifIXsr10test_utilsE35device_test_enabled_for_warp_size_vIXT2_EEEvE4typeEPT_PT0_S4_,"axG",@progbits,_Z33head_segmented_warp_reduce_kernelIihLj64ELj16EENSt9enable_ifIXsr10test_utilsE35device_test_enabled_for_warp_size_vIXT2_EEEvE4typeEPT_PT0_S4_,comdat
	.protected	_Z33head_segmented_warp_reduce_kernelIihLj64ELj16EENSt9enable_ifIXsr10test_utilsE35device_test_enabled_for_warp_size_vIXT2_EEEvE4typeEPT_PT0_S4_ ; -- Begin function _Z33head_segmented_warp_reduce_kernelIihLj64ELj16EENSt9enable_ifIXsr10test_utilsE35device_test_enabled_for_warp_size_vIXT2_EEEvE4typeEPT_PT0_S4_
	.globl	_Z33head_segmented_warp_reduce_kernelIihLj64ELj16EENSt9enable_ifIXsr10test_utilsE35device_test_enabled_for_warp_size_vIXT2_EEEvE4typeEPT_PT0_S4_
	.p2align	8
	.type	_Z33head_segmented_warp_reduce_kernelIihLj64ELj16EENSt9enable_ifIXsr10test_utilsE35device_test_enabled_for_warp_size_vIXT2_EEEvE4typeEPT_PT0_S4_,@function
_Z33head_segmented_warp_reduce_kernelIihLj64ELj16EENSt9enable_ifIXsr10test_utilsE35device_test_enabled_for_warp_size_vIXT2_EEEvE4typeEPT_PT0_S4_: ; @_Z33head_segmented_warp_reduce_kernelIihLj64ELj16EENSt9enable_ifIXsr10test_utilsE35device_test_enabled_for_warp_size_vIXT2_EEEvE4typeEPT_PT0_S4_
; %bb.0:
	s_load_dword s2, s[4:5], 0x24
	s_load_dwordx4 s[8:11], s[4:5], 0x0
	s_load_dwordx2 s[0:1], s[4:5], 0x10
	v_mov_b32_e32 v1, 0
	s_waitcnt lgkmcnt(0)
	s_and_b32 s2, s2, 0xffff
	s_mul_i32 s6, s6, s2
	v_add_u32_e32 v0, s6, v0
	v_lshlrev_b64 v[2:3], 2, v[0:1]
	global_load_ubyte v4, v0, s[10:11]
	v_mov_b32_e32 v1, s9
	v_add_co_u32_e32 v0, vcc, s8, v2
	v_addc_co_u32_e32 v1, vcc, v1, v3, vcc
	global_load_dword v5, v[0:1], off
	v_mbcnt_lo_u32_b32 v0, -1, 0
	v_mbcnt_hi_u32_b32 v6, -1, v0
	v_and_b32_e32 v8, 15, v6
	v_cmp_ne_u32_e32 vcc, 15, v8
	v_addc_co_u32_e32 v9, vcc, 0, v6, vcc
	v_cmp_gt_u32_e32 vcc, 14, v8
	v_cndmask_b32_e64 v11, 0, 1, vcc
	v_lshlrev_b64 v[0:1], v6, -1
	v_and_b32_e32 v7, 0x70, v6
	v_lshlrev_b32_e32 v9, 2, v9
	v_lshlrev_b32_e32 v11, 1, v11
	v_add_lshl_u32 v11, v11, v6, 2
	v_add_u32_e32 v10, 2, v8
	v_add_u32_e32 v12, 4, v8
	s_waitcnt vmcnt(1)
	v_cmp_ne_u16_e32 vcc, 0, v4
	s_lshr_b64 s[2:3], vcc, 1
	v_and_b32_e32 v1, s3, v1
	v_and_b32_e32 v0, s2, v0
	v_lshrrev_b64 v[0:1], v7, v[0:1]
	v_or_b32_e32 v0, 0x8000, v0
	s_waitcnt vmcnt(0)
	ds_bpermute_b32 v4, v9, v5
	v_ffbl_b32_e32 v1, v1
	v_add_u32_e32 v1, 32, v1
	v_ffbl_b32_e32 v0, v0
	v_min_u32_e32 v0, v0, v1
	v_cmp_lt_u32_e32 vcc, v8, v0
	s_waitcnt lgkmcnt(0)
	v_cndmask_b32_e32 v1, 0, v4, vcc
	v_add_u32_e32 v1, v1, v5
	ds_bpermute_b32 v4, v11, v1
	v_cmp_gt_u32_e32 vcc, 12, v8
	v_cndmask_b32_e64 v5, 0, 1, vcc
	v_cmp_le_u32_e32 vcc, v10, v0
	v_lshlrev_b32_e32 v5, 2, v5
	s_waitcnt lgkmcnt(0)
	v_cndmask_b32_e32 v4, 0, v4, vcc
	v_add_lshl_u32 v5, v5, v6, 2
	v_add_u32_e32 v1, v1, v4
	ds_bpermute_b32 v4, v5, v1
	v_cmp_gt_u32_e32 vcc, 8, v8
	v_cndmask_b32_e64 v5, 0, 1, vcc
	v_cmp_le_u32_e32 vcc, v12, v0
	v_lshlrev_b32_e32 v5, 3, v5
	s_waitcnt lgkmcnt(0)
	v_cndmask_b32_e32 v4, 0, v4, vcc
	v_add_lshl_u32 v5, v5, v6, 2
	v_add_u32_e32 v1, v1, v4
	ds_bpermute_b32 v4, v5, v1
	v_add_u32_e32 v5, 8, v8
	v_cmp_le_u32_e32 vcc, v5, v0
	v_mov_b32_e32 v6, s1
	s_waitcnt lgkmcnt(0)
	v_cndmask_b32_e32 v0, 0, v4, vcc
	v_add_u32_e32 v4, v1, v0
	v_add_co_u32_e32 v0, vcc, s0, v2
	v_addc_co_u32_e32 v1, vcc, v6, v3, vcc
	global_store_dword v[0:1], v4, off
	s_endpgm
	.section	.rodata,"a",@progbits
	.p2align	6, 0x0
	.amdhsa_kernel _Z33head_segmented_warp_reduce_kernelIihLj64ELj16EENSt9enable_ifIXsr10test_utilsE35device_test_enabled_for_warp_size_vIXT2_EEEvE4typeEPT_PT0_S4_
		.amdhsa_group_segment_fixed_size 0
		.amdhsa_private_segment_fixed_size 0
		.amdhsa_kernarg_size 280
		.amdhsa_user_sgpr_count 6
		.amdhsa_user_sgpr_private_segment_buffer 1
		.amdhsa_user_sgpr_dispatch_ptr 0
		.amdhsa_user_sgpr_queue_ptr 0
		.amdhsa_user_sgpr_kernarg_segment_ptr 1
		.amdhsa_user_sgpr_dispatch_id 0
		.amdhsa_user_sgpr_flat_scratch_init 0
		.amdhsa_user_sgpr_kernarg_preload_length 0
		.amdhsa_user_sgpr_kernarg_preload_offset 0
		.amdhsa_user_sgpr_private_segment_size 0
		.amdhsa_uses_dynamic_stack 0
		.amdhsa_system_sgpr_private_segment_wavefront_offset 0
		.amdhsa_system_sgpr_workgroup_id_x 1
		.amdhsa_system_sgpr_workgroup_id_y 0
		.amdhsa_system_sgpr_workgroup_id_z 0
		.amdhsa_system_sgpr_workgroup_info 0
		.amdhsa_system_vgpr_workitem_id 0
		.amdhsa_next_free_vgpr 13
		.amdhsa_next_free_sgpr 12
		.amdhsa_accum_offset 16
		.amdhsa_reserve_vcc 1
		.amdhsa_reserve_flat_scratch 0
		.amdhsa_float_round_mode_32 0
		.amdhsa_float_round_mode_16_64 0
		.amdhsa_float_denorm_mode_32 3
		.amdhsa_float_denorm_mode_16_64 3
		.amdhsa_dx10_clamp 1
		.amdhsa_ieee_mode 1
		.amdhsa_fp16_overflow 0
		.amdhsa_tg_split 0
		.amdhsa_exception_fp_ieee_invalid_op 0
		.amdhsa_exception_fp_denorm_src 0
		.amdhsa_exception_fp_ieee_div_zero 0
		.amdhsa_exception_fp_ieee_overflow 0
		.amdhsa_exception_fp_ieee_underflow 0
		.amdhsa_exception_fp_ieee_inexact 0
		.amdhsa_exception_int_div_zero 0
	.end_amdhsa_kernel
	.section	.text._Z33head_segmented_warp_reduce_kernelIihLj64ELj16EENSt9enable_ifIXsr10test_utilsE35device_test_enabled_for_warp_size_vIXT2_EEEvE4typeEPT_PT0_S4_,"axG",@progbits,_Z33head_segmented_warp_reduce_kernelIihLj64ELj16EENSt9enable_ifIXsr10test_utilsE35device_test_enabled_for_warp_size_vIXT2_EEEvE4typeEPT_PT0_S4_,comdat
.Lfunc_end183:
	.size	_Z33head_segmented_warp_reduce_kernelIihLj64ELj16EENSt9enable_ifIXsr10test_utilsE35device_test_enabled_for_warp_size_vIXT2_EEEvE4typeEPT_PT0_S4_, .Lfunc_end183-_Z33head_segmented_warp_reduce_kernelIihLj64ELj16EENSt9enable_ifIXsr10test_utilsE35device_test_enabled_for_warp_size_vIXT2_EEEvE4typeEPT_PT0_S4_
                                        ; -- End function
	.section	.AMDGPU.csdata,"",@progbits
; Kernel info:
; codeLenInByte = 392
; NumSgprs: 16
; NumVgprs: 13
; NumAgprs: 0
; TotalNumVgprs: 13
; ScratchSize: 0
; MemoryBound: 0
; FloatMode: 240
; IeeeMode: 1
; LDSByteSize: 0 bytes/workgroup (compile time only)
; SGPRBlocks: 1
; VGPRBlocks: 1
; NumSGPRsForWavesPerEU: 16
; NumVGPRsForWavesPerEU: 13
; AccumOffset: 16
; Occupancy: 8
; WaveLimiterHint : 0
; COMPUTE_PGM_RSRC2:SCRATCH_EN: 0
; COMPUTE_PGM_RSRC2:USER_SGPR: 6
; COMPUTE_PGM_RSRC2:TRAP_HANDLER: 0
; COMPUTE_PGM_RSRC2:TGID_X_EN: 1
; COMPUTE_PGM_RSRC2:TGID_Y_EN: 0
; COMPUTE_PGM_RSRC2:TGID_Z_EN: 0
; COMPUTE_PGM_RSRC2:TIDIG_COMP_CNT: 0
; COMPUTE_PGM_RSRC3_GFX90A:ACCUM_OFFSET: 3
; COMPUTE_PGM_RSRC3_GFX90A:TG_SPLIT: 0
	.section	.text._Z33head_segmented_warp_reduce_kernelIihLj32ELj8EENSt9enable_ifIXsr10test_utilsE35device_test_enabled_for_warp_size_vIXT2_EEEvE4typeEPT_PT0_S4_,"axG",@progbits,_Z33head_segmented_warp_reduce_kernelIihLj32ELj8EENSt9enable_ifIXsr10test_utilsE35device_test_enabled_for_warp_size_vIXT2_EEEvE4typeEPT_PT0_S4_,comdat
	.protected	_Z33head_segmented_warp_reduce_kernelIihLj32ELj8EENSt9enable_ifIXsr10test_utilsE35device_test_enabled_for_warp_size_vIXT2_EEEvE4typeEPT_PT0_S4_ ; -- Begin function _Z33head_segmented_warp_reduce_kernelIihLj32ELj8EENSt9enable_ifIXsr10test_utilsE35device_test_enabled_for_warp_size_vIXT2_EEEvE4typeEPT_PT0_S4_
	.globl	_Z33head_segmented_warp_reduce_kernelIihLj32ELj8EENSt9enable_ifIXsr10test_utilsE35device_test_enabled_for_warp_size_vIXT2_EEEvE4typeEPT_PT0_S4_
	.p2align	8
	.type	_Z33head_segmented_warp_reduce_kernelIihLj32ELj8EENSt9enable_ifIXsr10test_utilsE35device_test_enabled_for_warp_size_vIXT2_EEEvE4typeEPT_PT0_S4_,@function
_Z33head_segmented_warp_reduce_kernelIihLj32ELj8EENSt9enable_ifIXsr10test_utilsE35device_test_enabled_for_warp_size_vIXT2_EEEvE4typeEPT_PT0_S4_: ; @_Z33head_segmented_warp_reduce_kernelIihLj32ELj8EENSt9enable_ifIXsr10test_utilsE35device_test_enabled_for_warp_size_vIXT2_EEEvE4typeEPT_PT0_S4_
; %bb.0:
	s_load_dword s7, s[4:5], 0x24
	s_load_dwordx4 s[0:3], s[4:5], 0x0
	s_load_dwordx2 s[8:9], s[4:5], 0x10
	v_mov_b32_e32 v1, 0
	s_waitcnt lgkmcnt(0)
	s_and_b32 s4, s7, 0xffff
	s_mul_i32 s6, s6, s4
	v_add_u32_e32 v0, s6, v0
	v_lshlrev_b64 v[2:3], 2, v[0:1]
	global_load_ubyte v4, v0, s[2:3]
	v_mov_b32_e32 v1, s1
	v_add_co_u32_e32 v0, vcc, s0, v2
	v_addc_co_u32_e32 v1, vcc, v1, v3, vcc
	global_load_dword v5, v[0:1], off
	v_mbcnt_lo_u32_b32 v0, -1, 0
	v_mbcnt_hi_u32_b32 v6, -1, v0
	v_and_b32_e32 v8, 7, v6
	v_cmp_ne_u32_e32 vcc, 7, v8
	v_addc_co_u32_e32 v9, vcc, 0, v6, vcc
	v_cmp_gt_u32_e32 vcc, 6, v8
	v_cndmask_b32_e64 v11, 0, 1, vcc
	v_lshlrev_b64 v[0:1], v6, -1
	v_and_b32_e32 v7, 0x78, v6
	v_lshlrev_b32_e32 v9, 2, v9
	v_lshlrev_b32_e32 v11, 1, v11
	v_add_lshl_u32 v11, v11, v6, 2
	v_add_u32_e32 v10, 2, v8
	s_waitcnt vmcnt(1)
	v_cmp_ne_u16_e32 vcc, 0, v4
	s_lshr_b64 s[0:1], vcc, 1
	v_and_b32_e32 v1, s1, v1
	v_and_b32_e32 v0, s0, v0
	v_lshrrev_b64 v[0:1], v7, v[0:1]
	v_or_b32_e32 v0, 0x80, v0
	s_waitcnt vmcnt(0)
	ds_bpermute_b32 v4, v9, v5
	v_ffbl_b32_e32 v1, v1
	v_add_u32_e32 v1, 32, v1
	v_ffbl_b32_e32 v0, v0
	v_min_u32_e32 v0, v0, v1
	v_cmp_lt_u32_e32 vcc, v8, v0
	s_waitcnt lgkmcnt(0)
	v_cndmask_b32_e32 v1, 0, v4, vcc
	v_add_u32_e32 v1, v1, v5
	ds_bpermute_b32 v4, v11, v1
	v_cmp_gt_u32_e32 vcc, 4, v8
	v_cndmask_b32_e64 v5, 0, 1, vcc
	v_cmp_le_u32_e32 vcc, v10, v0
	v_lshlrev_b32_e32 v5, 2, v5
	s_waitcnt lgkmcnt(0)
	v_cndmask_b32_e32 v4, 0, v4, vcc
	v_add_lshl_u32 v5, v5, v6, 2
	v_add_u32_e32 v1, v1, v4
	ds_bpermute_b32 v4, v5, v1
	v_add_u32_e32 v5, 4, v8
	v_cmp_le_u32_e32 vcc, v5, v0
	v_mov_b32_e32 v6, s9
	s_waitcnt lgkmcnt(0)
	v_cndmask_b32_e32 v0, 0, v4, vcc
	v_add_u32_e32 v4, v1, v0
	v_add_co_u32_e32 v0, vcc, s8, v2
	v_addc_co_u32_e32 v1, vcc, v6, v3, vcc
	global_store_dword v[0:1], v4, off
	s_endpgm
	.section	.rodata,"a",@progbits
	.p2align	6, 0x0
	.amdhsa_kernel _Z33head_segmented_warp_reduce_kernelIihLj32ELj8EENSt9enable_ifIXsr10test_utilsE35device_test_enabled_for_warp_size_vIXT2_EEEvE4typeEPT_PT0_S4_
		.amdhsa_group_segment_fixed_size 0
		.amdhsa_private_segment_fixed_size 0
		.amdhsa_kernarg_size 280
		.amdhsa_user_sgpr_count 6
		.amdhsa_user_sgpr_private_segment_buffer 1
		.amdhsa_user_sgpr_dispatch_ptr 0
		.amdhsa_user_sgpr_queue_ptr 0
		.amdhsa_user_sgpr_kernarg_segment_ptr 1
		.amdhsa_user_sgpr_dispatch_id 0
		.amdhsa_user_sgpr_flat_scratch_init 0
		.amdhsa_user_sgpr_kernarg_preload_length 0
		.amdhsa_user_sgpr_kernarg_preload_offset 0
		.amdhsa_user_sgpr_private_segment_size 0
		.amdhsa_uses_dynamic_stack 0
		.amdhsa_system_sgpr_private_segment_wavefront_offset 0
		.amdhsa_system_sgpr_workgroup_id_x 1
		.amdhsa_system_sgpr_workgroup_id_y 0
		.amdhsa_system_sgpr_workgroup_id_z 0
		.amdhsa_system_sgpr_workgroup_info 0
		.amdhsa_system_vgpr_workitem_id 0
		.amdhsa_next_free_vgpr 12
		.amdhsa_next_free_sgpr 10
		.amdhsa_accum_offset 12
		.amdhsa_reserve_vcc 1
		.amdhsa_reserve_flat_scratch 0
		.amdhsa_float_round_mode_32 0
		.amdhsa_float_round_mode_16_64 0
		.amdhsa_float_denorm_mode_32 3
		.amdhsa_float_denorm_mode_16_64 3
		.amdhsa_dx10_clamp 1
		.amdhsa_ieee_mode 1
		.amdhsa_fp16_overflow 0
		.amdhsa_tg_split 0
		.amdhsa_exception_fp_ieee_invalid_op 0
		.amdhsa_exception_fp_denorm_src 0
		.amdhsa_exception_fp_ieee_div_zero 0
		.amdhsa_exception_fp_ieee_overflow 0
		.amdhsa_exception_fp_ieee_underflow 0
		.amdhsa_exception_fp_ieee_inexact 0
		.amdhsa_exception_int_div_zero 0
	.end_amdhsa_kernel
	.section	.text._Z33head_segmented_warp_reduce_kernelIihLj32ELj8EENSt9enable_ifIXsr10test_utilsE35device_test_enabled_for_warp_size_vIXT2_EEEvE4typeEPT_PT0_S4_,"axG",@progbits,_Z33head_segmented_warp_reduce_kernelIihLj32ELj8EENSt9enable_ifIXsr10test_utilsE35device_test_enabled_for_warp_size_vIXT2_EEEvE4typeEPT_PT0_S4_,comdat
.Lfunc_end184:
	.size	_Z33head_segmented_warp_reduce_kernelIihLj32ELj8EENSt9enable_ifIXsr10test_utilsE35device_test_enabled_for_warp_size_vIXT2_EEEvE4typeEPT_PT0_S4_, .Lfunc_end184-_Z33head_segmented_warp_reduce_kernelIihLj32ELj8EENSt9enable_ifIXsr10test_utilsE35device_test_enabled_for_warp_size_vIXT2_EEEvE4typeEPT_PT0_S4_
                                        ; -- End function
	.section	.AMDGPU.csdata,"",@progbits
; Kernel info:
; codeLenInByte = 340
; NumSgprs: 14
; NumVgprs: 12
; NumAgprs: 0
; TotalNumVgprs: 12
; ScratchSize: 0
; MemoryBound: 0
; FloatMode: 240
; IeeeMode: 1
; LDSByteSize: 0 bytes/workgroup (compile time only)
; SGPRBlocks: 1
; VGPRBlocks: 1
; NumSGPRsForWavesPerEU: 14
; NumVGPRsForWavesPerEU: 12
; AccumOffset: 12
; Occupancy: 8
; WaveLimiterHint : 0
; COMPUTE_PGM_RSRC2:SCRATCH_EN: 0
; COMPUTE_PGM_RSRC2:USER_SGPR: 6
; COMPUTE_PGM_RSRC2:TRAP_HANDLER: 0
; COMPUTE_PGM_RSRC2:TGID_X_EN: 1
; COMPUTE_PGM_RSRC2:TGID_Y_EN: 0
; COMPUTE_PGM_RSRC2:TGID_Z_EN: 0
; COMPUTE_PGM_RSRC2:TIDIG_COMP_CNT: 0
; COMPUTE_PGM_RSRC3_GFX90A:ACCUM_OFFSET: 2
; COMPUTE_PGM_RSRC3_GFX90A:TG_SPLIT: 0
	.section	.text._Z33head_segmented_warp_reduce_kernelIihLj64ELj8EENSt9enable_ifIXsr10test_utilsE35device_test_enabled_for_warp_size_vIXT2_EEEvE4typeEPT_PT0_S4_,"axG",@progbits,_Z33head_segmented_warp_reduce_kernelIihLj64ELj8EENSt9enable_ifIXsr10test_utilsE35device_test_enabled_for_warp_size_vIXT2_EEEvE4typeEPT_PT0_S4_,comdat
	.protected	_Z33head_segmented_warp_reduce_kernelIihLj64ELj8EENSt9enable_ifIXsr10test_utilsE35device_test_enabled_for_warp_size_vIXT2_EEEvE4typeEPT_PT0_S4_ ; -- Begin function _Z33head_segmented_warp_reduce_kernelIihLj64ELj8EENSt9enable_ifIXsr10test_utilsE35device_test_enabled_for_warp_size_vIXT2_EEEvE4typeEPT_PT0_S4_
	.globl	_Z33head_segmented_warp_reduce_kernelIihLj64ELj8EENSt9enable_ifIXsr10test_utilsE35device_test_enabled_for_warp_size_vIXT2_EEEvE4typeEPT_PT0_S4_
	.p2align	8
	.type	_Z33head_segmented_warp_reduce_kernelIihLj64ELj8EENSt9enable_ifIXsr10test_utilsE35device_test_enabled_for_warp_size_vIXT2_EEEvE4typeEPT_PT0_S4_,@function
_Z33head_segmented_warp_reduce_kernelIihLj64ELj8EENSt9enable_ifIXsr10test_utilsE35device_test_enabled_for_warp_size_vIXT2_EEEvE4typeEPT_PT0_S4_: ; @_Z33head_segmented_warp_reduce_kernelIihLj64ELj8EENSt9enable_ifIXsr10test_utilsE35device_test_enabled_for_warp_size_vIXT2_EEEvE4typeEPT_PT0_S4_
; %bb.0:
	s_load_dword s7, s[4:5], 0x24
	s_load_dwordx4 s[0:3], s[4:5], 0x0
	s_load_dwordx2 s[8:9], s[4:5], 0x10
	v_mov_b32_e32 v1, 0
	s_waitcnt lgkmcnt(0)
	s_and_b32 s4, s7, 0xffff
	s_mul_i32 s6, s6, s4
	v_add_u32_e32 v0, s6, v0
	v_lshlrev_b64 v[2:3], 2, v[0:1]
	global_load_ubyte v4, v0, s[2:3]
	v_mov_b32_e32 v1, s1
	v_add_co_u32_e32 v0, vcc, s0, v2
	v_addc_co_u32_e32 v1, vcc, v1, v3, vcc
	global_load_dword v5, v[0:1], off
	v_mbcnt_lo_u32_b32 v0, -1, 0
	v_mbcnt_hi_u32_b32 v6, -1, v0
	v_and_b32_e32 v8, 7, v6
	v_cmp_ne_u32_e32 vcc, 7, v8
	v_addc_co_u32_e32 v9, vcc, 0, v6, vcc
	v_cmp_gt_u32_e32 vcc, 6, v8
	v_cndmask_b32_e64 v11, 0, 1, vcc
	v_lshlrev_b64 v[0:1], v6, -1
	v_and_b32_e32 v7, 0x78, v6
	v_lshlrev_b32_e32 v9, 2, v9
	v_lshlrev_b32_e32 v11, 1, v11
	v_add_lshl_u32 v11, v11, v6, 2
	v_add_u32_e32 v10, 2, v8
	s_waitcnt vmcnt(1)
	v_cmp_ne_u16_e32 vcc, 0, v4
	s_lshr_b64 s[0:1], vcc, 1
	v_and_b32_e32 v1, s1, v1
	v_and_b32_e32 v0, s0, v0
	v_lshrrev_b64 v[0:1], v7, v[0:1]
	v_or_b32_e32 v0, 0x80, v0
	s_waitcnt vmcnt(0)
	ds_bpermute_b32 v4, v9, v5
	v_ffbl_b32_e32 v1, v1
	v_add_u32_e32 v1, 32, v1
	v_ffbl_b32_e32 v0, v0
	v_min_u32_e32 v0, v0, v1
	v_cmp_lt_u32_e32 vcc, v8, v0
	s_waitcnt lgkmcnt(0)
	v_cndmask_b32_e32 v1, 0, v4, vcc
	v_add_u32_e32 v1, v1, v5
	ds_bpermute_b32 v4, v11, v1
	v_cmp_gt_u32_e32 vcc, 4, v8
	v_cndmask_b32_e64 v5, 0, 1, vcc
	v_cmp_le_u32_e32 vcc, v10, v0
	v_lshlrev_b32_e32 v5, 2, v5
	s_waitcnt lgkmcnt(0)
	v_cndmask_b32_e32 v4, 0, v4, vcc
	v_add_lshl_u32 v5, v5, v6, 2
	v_add_u32_e32 v1, v1, v4
	ds_bpermute_b32 v4, v5, v1
	v_add_u32_e32 v5, 4, v8
	v_cmp_le_u32_e32 vcc, v5, v0
	v_mov_b32_e32 v6, s9
	s_waitcnt lgkmcnt(0)
	v_cndmask_b32_e32 v0, 0, v4, vcc
	v_add_u32_e32 v4, v1, v0
	v_add_co_u32_e32 v0, vcc, s8, v2
	v_addc_co_u32_e32 v1, vcc, v6, v3, vcc
	global_store_dword v[0:1], v4, off
	s_endpgm
	.section	.rodata,"a",@progbits
	.p2align	6, 0x0
	.amdhsa_kernel _Z33head_segmented_warp_reduce_kernelIihLj64ELj8EENSt9enable_ifIXsr10test_utilsE35device_test_enabled_for_warp_size_vIXT2_EEEvE4typeEPT_PT0_S4_
		.amdhsa_group_segment_fixed_size 0
		.amdhsa_private_segment_fixed_size 0
		.amdhsa_kernarg_size 280
		.amdhsa_user_sgpr_count 6
		.amdhsa_user_sgpr_private_segment_buffer 1
		.amdhsa_user_sgpr_dispatch_ptr 0
		.amdhsa_user_sgpr_queue_ptr 0
		.amdhsa_user_sgpr_kernarg_segment_ptr 1
		.amdhsa_user_sgpr_dispatch_id 0
		.amdhsa_user_sgpr_flat_scratch_init 0
		.amdhsa_user_sgpr_kernarg_preload_length 0
		.amdhsa_user_sgpr_kernarg_preload_offset 0
		.amdhsa_user_sgpr_private_segment_size 0
		.amdhsa_uses_dynamic_stack 0
		.amdhsa_system_sgpr_private_segment_wavefront_offset 0
		.amdhsa_system_sgpr_workgroup_id_x 1
		.amdhsa_system_sgpr_workgroup_id_y 0
		.amdhsa_system_sgpr_workgroup_id_z 0
		.amdhsa_system_sgpr_workgroup_info 0
		.amdhsa_system_vgpr_workitem_id 0
		.amdhsa_next_free_vgpr 12
		.amdhsa_next_free_sgpr 10
		.amdhsa_accum_offset 12
		.amdhsa_reserve_vcc 1
		.amdhsa_reserve_flat_scratch 0
		.amdhsa_float_round_mode_32 0
		.amdhsa_float_round_mode_16_64 0
		.amdhsa_float_denorm_mode_32 3
		.amdhsa_float_denorm_mode_16_64 3
		.amdhsa_dx10_clamp 1
		.amdhsa_ieee_mode 1
		.amdhsa_fp16_overflow 0
		.amdhsa_tg_split 0
		.amdhsa_exception_fp_ieee_invalid_op 0
		.amdhsa_exception_fp_denorm_src 0
		.amdhsa_exception_fp_ieee_div_zero 0
		.amdhsa_exception_fp_ieee_overflow 0
		.amdhsa_exception_fp_ieee_underflow 0
		.amdhsa_exception_fp_ieee_inexact 0
		.amdhsa_exception_int_div_zero 0
	.end_amdhsa_kernel
	.section	.text._Z33head_segmented_warp_reduce_kernelIihLj64ELj8EENSt9enable_ifIXsr10test_utilsE35device_test_enabled_for_warp_size_vIXT2_EEEvE4typeEPT_PT0_S4_,"axG",@progbits,_Z33head_segmented_warp_reduce_kernelIihLj64ELj8EENSt9enable_ifIXsr10test_utilsE35device_test_enabled_for_warp_size_vIXT2_EEEvE4typeEPT_PT0_S4_,comdat
.Lfunc_end185:
	.size	_Z33head_segmented_warp_reduce_kernelIihLj64ELj8EENSt9enable_ifIXsr10test_utilsE35device_test_enabled_for_warp_size_vIXT2_EEEvE4typeEPT_PT0_S4_, .Lfunc_end185-_Z33head_segmented_warp_reduce_kernelIihLj64ELj8EENSt9enable_ifIXsr10test_utilsE35device_test_enabled_for_warp_size_vIXT2_EEEvE4typeEPT_PT0_S4_
                                        ; -- End function
	.section	.AMDGPU.csdata,"",@progbits
; Kernel info:
; codeLenInByte = 340
; NumSgprs: 14
; NumVgprs: 12
; NumAgprs: 0
; TotalNumVgprs: 12
; ScratchSize: 0
; MemoryBound: 0
; FloatMode: 240
; IeeeMode: 1
; LDSByteSize: 0 bytes/workgroup (compile time only)
; SGPRBlocks: 1
; VGPRBlocks: 1
; NumSGPRsForWavesPerEU: 14
; NumVGPRsForWavesPerEU: 12
; AccumOffset: 12
; Occupancy: 8
; WaveLimiterHint : 0
; COMPUTE_PGM_RSRC2:SCRATCH_EN: 0
; COMPUTE_PGM_RSRC2:USER_SGPR: 6
; COMPUTE_PGM_RSRC2:TRAP_HANDLER: 0
; COMPUTE_PGM_RSRC2:TGID_X_EN: 1
; COMPUTE_PGM_RSRC2:TGID_Y_EN: 0
; COMPUTE_PGM_RSRC2:TGID_Z_EN: 0
; COMPUTE_PGM_RSRC2:TIDIG_COMP_CNT: 0
; COMPUTE_PGM_RSRC3_GFX90A:ACCUM_OFFSET: 2
; COMPUTE_PGM_RSRC3_GFX90A:TG_SPLIT: 0
	.section	.text._Z33head_segmented_warp_reduce_kernelIihLj32ELj4EENSt9enable_ifIXsr10test_utilsE35device_test_enabled_for_warp_size_vIXT2_EEEvE4typeEPT_PT0_S4_,"axG",@progbits,_Z33head_segmented_warp_reduce_kernelIihLj32ELj4EENSt9enable_ifIXsr10test_utilsE35device_test_enabled_for_warp_size_vIXT2_EEEvE4typeEPT_PT0_S4_,comdat
	.protected	_Z33head_segmented_warp_reduce_kernelIihLj32ELj4EENSt9enable_ifIXsr10test_utilsE35device_test_enabled_for_warp_size_vIXT2_EEEvE4typeEPT_PT0_S4_ ; -- Begin function _Z33head_segmented_warp_reduce_kernelIihLj32ELj4EENSt9enable_ifIXsr10test_utilsE35device_test_enabled_for_warp_size_vIXT2_EEEvE4typeEPT_PT0_S4_
	.globl	_Z33head_segmented_warp_reduce_kernelIihLj32ELj4EENSt9enable_ifIXsr10test_utilsE35device_test_enabled_for_warp_size_vIXT2_EEEvE4typeEPT_PT0_S4_
	.p2align	8
	.type	_Z33head_segmented_warp_reduce_kernelIihLj32ELj4EENSt9enable_ifIXsr10test_utilsE35device_test_enabled_for_warp_size_vIXT2_EEEvE4typeEPT_PT0_S4_,@function
_Z33head_segmented_warp_reduce_kernelIihLj32ELj4EENSt9enable_ifIXsr10test_utilsE35device_test_enabled_for_warp_size_vIXT2_EEEvE4typeEPT_PT0_S4_: ; @_Z33head_segmented_warp_reduce_kernelIihLj32ELj4EENSt9enable_ifIXsr10test_utilsE35device_test_enabled_for_warp_size_vIXT2_EEEvE4typeEPT_PT0_S4_
; %bb.0:
	s_load_dword s7, s[4:5], 0x24
	s_load_dwordx4 s[0:3], s[4:5], 0x0
	s_load_dwordx2 s[8:9], s[4:5], 0x10
	v_mov_b32_e32 v1, 0
	s_waitcnt lgkmcnt(0)
	s_and_b32 s4, s7, 0xffff
	s_mul_i32 s6, s6, s4
	v_add_u32_e32 v0, s6, v0
	v_lshlrev_b64 v[2:3], 2, v[0:1]
	global_load_ubyte v4, v0, s[2:3]
	v_mov_b32_e32 v1, s1
	v_add_co_u32_e32 v0, vcc, s0, v2
	v_addc_co_u32_e32 v1, vcc, v1, v3, vcc
	global_load_dword v5, v[0:1], off
	v_mbcnt_lo_u32_b32 v0, -1, 0
	v_mbcnt_hi_u32_b32 v6, -1, v0
	v_and_b32_e32 v8, 3, v6
	v_cmp_ne_u32_e32 vcc, 3, v8
	v_addc_co_u32_e32 v9, vcc, 0, v6, vcc
	v_cmp_gt_u32_e32 vcc, 2, v8
	v_cndmask_b32_e64 v10, 0, 1, vcc
	v_lshlrev_b64 v[0:1], v6, -1
	v_and_b32_e32 v7, 0x7c, v6
	v_lshlrev_b32_e32 v9, 2, v9
	v_lshlrev_b32_e32 v10, 1, v10
	v_add_lshl_u32 v6, v10, v6, 2
	s_waitcnt vmcnt(1)
	v_cmp_ne_u16_e32 vcc, 0, v4
	s_lshr_b64 s[0:1], vcc, 1
	v_and_b32_e32 v1, s1, v1
	v_and_b32_e32 v0, s0, v0
	v_lshrrev_b64 v[0:1], v7, v[0:1]
	v_or_b32_e32 v0, 8, v0
	s_waitcnt vmcnt(0)
	ds_bpermute_b32 v4, v9, v5
	v_ffbl_b32_e32 v1, v1
	v_add_u32_e32 v1, 32, v1
	v_ffbl_b32_e32 v0, v0
	v_min_u32_e32 v0, v0, v1
	v_cmp_lt_u32_e32 vcc, v8, v0
	s_waitcnt lgkmcnt(0)
	v_cndmask_b32_e32 v1, 0, v4, vcc
	v_add_u32_e32 v1, v1, v5
	ds_bpermute_b32 v4, v6, v1
	v_add_u32_e32 v5, 2, v8
	v_cmp_le_u32_e32 vcc, v5, v0
	v_mov_b32_e32 v6, s9
	s_waitcnt lgkmcnt(0)
	v_cndmask_b32_e32 v0, 0, v4, vcc
	v_add_u32_e32 v4, v1, v0
	v_add_co_u32_e32 v0, vcc, s8, v2
	v_addc_co_u32_e32 v1, vcc, v6, v3, vcc
	global_store_dword v[0:1], v4, off
	s_endpgm
	.section	.rodata,"a",@progbits
	.p2align	6, 0x0
	.amdhsa_kernel _Z33head_segmented_warp_reduce_kernelIihLj32ELj4EENSt9enable_ifIXsr10test_utilsE35device_test_enabled_for_warp_size_vIXT2_EEEvE4typeEPT_PT0_S4_
		.amdhsa_group_segment_fixed_size 0
		.amdhsa_private_segment_fixed_size 0
		.amdhsa_kernarg_size 280
		.amdhsa_user_sgpr_count 6
		.amdhsa_user_sgpr_private_segment_buffer 1
		.amdhsa_user_sgpr_dispatch_ptr 0
		.amdhsa_user_sgpr_queue_ptr 0
		.amdhsa_user_sgpr_kernarg_segment_ptr 1
		.amdhsa_user_sgpr_dispatch_id 0
		.amdhsa_user_sgpr_flat_scratch_init 0
		.amdhsa_user_sgpr_kernarg_preload_length 0
		.amdhsa_user_sgpr_kernarg_preload_offset 0
		.amdhsa_user_sgpr_private_segment_size 0
		.amdhsa_uses_dynamic_stack 0
		.amdhsa_system_sgpr_private_segment_wavefront_offset 0
		.amdhsa_system_sgpr_workgroup_id_x 1
		.amdhsa_system_sgpr_workgroup_id_y 0
		.amdhsa_system_sgpr_workgroup_id_z 0
		.amdhsa_system_sgpr_workgroup_info 0
		.amdhsa_system_vgpr_workitem_id 0
		.amdhsa_next_free_vgpr 11
		.amdhsa_next_free_sgpr 10
		.amdhsa_accum_offset 12
		.amdhsa_reserve_vcc 1
		.amdhsa_reserve_flat_scratch 0
		.amdhsa_float_round_mode_32 0
		.amdhsa_float_round_mode_16_64 0
		.amdhsa_float_denorm_mode_32 3
		.amdhsa_float_denorm_mode_16_64 3
		.amdhsa_dx10_clamp 1
		.amdhsa_ieee_mode 1
		.amdhsa_fp16_overflow 0
		.amdhsa_tg_split 0
		.amdhsa_exception_fp_ieee_invalid_op 0
		.amdhsa_exception_fp_denorm_src 0
		.amdhsa_exception_fp_ieee_div_zero 0
		.amdhsa_exception_fp_ieee_overflow 0
		.amdhsa_exception_fp_ieee_underflow 0
		.amdhsa_exception_fp_ieee_inexact 0
		.amdhsa_exception_int_div_zero 0
	.end_amdhsa_kernel
	.section	.text._Z33head_segmented_warp_reduce_kernelIihLj32ELj4EENSt9enable_ifIXsr10test_utilsE35device_test_enabled_for_warp_size_vIXT2_EEEvE4typeEPT_PT0_S4_,"axG",@progbits,_Z33head_segmented_warp_reduce_kernelIihLj32ELj4EENSt9enable_ifIXsr10test_utilsE35device_test_enabled_for_warp_size_vIXT2_EEEvE4typeEPT_PT0_S4_,comdat
.Lfunc_end186:
	.size	_Z33head_segmented_warp_reduce_kernelIihLj32ELj4EENSt9enable_ifIXsr10test_utilsE35device_test_enabled_for_warp_size_vIXT2_EEEvE4typeEPT_PT0_S4_, .Lfunc_end186-_Z33head_segmented_warp_reduce_kernelIihLj32ELj4EENSt9enable_ifIXsr10test_utilsE35device_test_enabled_for_warp_size_vIXT2_EEEvE4typeEPT_PT0_S4_
                                        ; -- End function
	.section	.AMDGPU.csdata,"",@progbits
; Kernel info:
; codeLenInByte = 284
; NumSgprs: 14
; NumVgprs: 11
; NumAgprs: 0
; TotalNumVgprs: 11
; ScratchSize: 0
; MemoryBound: 0
; FloatMode: 240
; IeeeMode: 1
; LDSByteSize: 0 bytes/workgroup (compile time only)
; SGPRBlocks: 1
; VGPRBlocks: 1
; NumSGPRsForWavesPerEU: 14
; NumVGPRsForWavesPerEU: 11
; AccumOffset: 12
; Occupancy: 8
; WaveLimiterHint : 0
; COMPUTE_PGM_RSRC2:SCRATCH_EN: 0
; COMPUTE_PGM_RSRC2:USER_SGPR: 6
; COMPUTE_PGM_RSRC2:TRAP_HANDLER: 0
; COMPUTE_PGM_RSRC2:TGID_X_EN: 1
; COMPUTE_PGM_RSRC2:TGID_Y_EN: 0
; COMPUTE_PGM_RSRC2:TGID_Z_EN: 0
; COMPUTE_PGM_RSRC2:TIDIG_COMP_CNT: 0
; COMPUTE_PGM_RSRC3_GFX90A:ACCUM_OFFSET: 2
; COMPUTE_PGM_RSRC3_GFX90A:TG_SPLIT: 0
	.section	.text._Z33head_segmented_warp_reduce_kernelIihLj64ELj4EENSt9enable_ifIXsr10test_utilsE35device_test_enabled_for_warp_size_vIXT2_EEEvE4typeEPT_PT0_S4_,"axG",@progbits,_Z33head_segmented_warp_reduce_kernelIihLj64ELj4EENSt9enable_ifIXsr10test_utilsE35device_test_enabled_for_warp_size_vIXT2_EEEvE4typeEPT_PT0_S4_,comdat
	.protected	_Z33head_segmented_warp_reduce_kernelIihLj64ELj4EENSt9enable_ifIXsr10test_utilsE35device_test_enabled_for_warp_size_vIXT2_EEEvE4typeEPT_PT0_S4_ ; -- Begin function _Z33head_segmented_warp_reduce_kernelIihLj64ELj4EENSt9enable_ifIXsr10test_utilsE35device_test_enabled_for_warp_size_vIXT2_EEEvE4typeEPT_PT0_S4_
	.globl	_Z33head_segmented_warp_reduce_kernelIihLj64ELj4EENSt9enable_ifIXsr10test_utilsE35device_test_enabled_for_warp_size_vIXT2_EEEvE4typeEPT_PT0_S4_
	.p2align	8
	.type	_Z33head_segmented_warp_reduce_kernelIihLj64ELj4EENSt9enable_ifIXsr10test_utilsE35device_test_enabled_for_warp_size_vIXT2_EEEvE4typeEPT_PT0_S4_,@function
_Z33head_segmented_warp_reduce_kernelIihLj64ELj4EENSt9enable_ifIXsr10test_utilsE35device_test_enabled_for_warp_size_vIXT2_EEEvE4typeEPT_PT0_S4_: ; @_Z33head_segmented_warp_reduce_kernelIihLj64ELj4EENSt9enable_ifIXsr10test_utilsE35device_test_enabled_for_warp_size_vIXT2_EEEvE4typeEPT_PT0_S4_
; %bb.0:
	s_load_dword s7, s[4:5], 0x24
	s_load_dwordx4 s[0:3], s[4:5], 0x0
	s_load_dwordx2 s[8:9], s[4:5], 0x10
	v_mov_b32_e32 v1, 0
	s_waitcnt lgkmcnt(0)
	s_and_b32 s4, s7, 0xffff
	s_mul_i32 s6, s6, s4
	v_add_u32_e32 v0, s6, v0
	v_lshlrev_b64 v[2:3], 2, v[0:1]
	global_load_ubyte v4, v0, s[2:3]
	v_mov_b32_e32 v1, s1
	v_add_co_u32_e32 v0, vcc, s0, v2
	v_addc_co_u32_e32 v1, vcc, v1, v3, vcc
	global_load_dword v5, v[0:1], off
	v_mbcnt_lo_u32_b32 v0, -1, 0
	v_mbcnt_hi_u32_b32 v6, -1, v0
	v_and_b32_e32 v8, 3, v6
	v_cmp_ne_u32_e32 vcc, 3, v8
	v_addc_co_u32_e32 v9, vcc, 0, v6, vcc
	v_cmp_gt_u32_e32 vcc, 2, v8
	v_cndmask_b32_e64 v10, 0, 1, vcc
	v_lshlrev_b64 v[0:1], v6, -1
	v_and_b32_e32 v7, 0x7c, v6
	v_lshlrev_b32_e32 v9, 2, v9
	v_lshlrev_b32_e32 v10, 1, v10
	v_add_lshl_u32 v6, v10, v6, 2
	s_waitcnt vmcnt(1)
	v_cmp_ne_u16_e32 vcc, 0, v4
	s_lshr_b64 s[0:1], vcc, 1
	v_and_b32_e32 v1, s1, v1
	v_and_b32_e32 v0, s0, v0
	v_lshrrev_b64 v[0:1], v7, v[0:1]
	v_or_b32_e32 v0, 8, v0
	s_waitcnt vmcnt(0)
	ds_bpermute_b32 v4, v9, v5
	v_ffbl_b32_e32 v1, v1
	v_add_u32_e32 v1, 32, v1
	v_ffbl_b32_e32 v0, v0
	v_min_u32_e32 v0, v0, v1
	v_cmp_lt_u32_e32 vcc, v8, v0
	s_waitcnt lgkmcnt(0)
	v_cndmask_b32_e32 v1, 0, v4, vcc
	v_add_u32_e32 v1, v1, v5
	ds_bpermute_b32 v4, v6, v1
	v_add_u32_e32 v5, 2, v8
	v_cmp_le_u32_e32 vcc, v5, v0
	v_mov_b32_e32 v6, s9
	s_waitcnt lgkmcnt(0)
	v_cndmask_b32_e32 v0, 0, v4, vcc
	v_add_u32_e32 v4, v1, v0
	v_add_co_u32_e32 v0, vcc, s8, v2
	v_addc_co_u32_e32 v1, vcc, v6, v3, vcc
	global_store_dword v[0:1], v4, off
	s_endpgm
	.section	.rodata,"a",@progbits
	.p2align	6, 0x0
	.amdhsa_kernel _Z33head_segmented_warp_reduce_kernelIihLj64ELj4EENSt9enable_ifIXsr10test_utilsE35device_test_enabled_for_warp_size_vIXT2_EEEvE4typeEPT_PT0_S4_
		.amdhsa_group_segment_fixed_size 0
		.amdhsa_private_segment_fixed_size 0
		.amdhsa_kernarg_size 280
		.amdhsa_user_sgpr_count 6
		.amdhsa_user_sgpr_private_segment_buffer 1
		.amdhsa_user_sgpr_dispatch_ptr 0
		.amdhsa_user_sgpr_queue_ptr 0
		.amdhsa_user_sgpr_kernarg_segment_ptr 1
		.amdhsa_user_sgpr_dispatch_id 0
		.amdhsa_user_sgpr_flat_scratch_init 0
		.amdhsa_user_sgpr_kernarg_preload_length 0
		.amdhsa_user_sgpr_kernarg_preload_offset 0
		.amdhsa_user_sgpr_private_segment_size 0
		.amdhsa_uses_dynamic_stack 0
		.amdhsa_system_sgpr_private_segment_wavefront_offset 0
		.amdhsa_system_sgpr_workgroup_id_x 1
		.amdhsa_system_sgpr_workgroup_id_y 0
		.amdhsa_system_sgpr_workgroup_id_z 0
		.amdhsa_system_sgpr_workgroup_info 0
		.amdhsa_system_vgpr_workitem_id 0
		.amdhsa_next_free_vgpr 11
		.amdhsa_next_free_sgpr 10
		.amdhsa_accum_offset 12
		.amdhsa_reserve_vcc 1
		.amdhsa_reserve_flat_scratch 0
		.amdhsa_float_round_mode_32 0
		.amdhsa_float_round_mode_16_64 0
		.amdhsa_float_denorm_mode_32 3
		.amdhsa_float_denorm_mode_16_64 3
		.amdhsa_dx10_clamp 1
		.amdhsa_ieee_mode 1
		.amdhsa_fp16_overflow 0
		.amdhsa_tg_split 0
		.amdhsa_exception_fp_ieee_invalid_op 0
		.amdhsa_exception_fp_denorm_src 0
		.amdhsa_exception_fp_ieee_div_zero 0
		.amdhsa_exception_fp_ieee_overflow 0
		.amdhsa_exception_fp_ieee_underflow 0
		.amdhsa_exception_fp_ieee_inexact 0
		.amdhsa_exception_int_div_zero 0
	.end_amdhsa_kernel
	.section	.text._Z33head_segmented_warp_reduce_kernelIihLj64ELj4EENSt9enable_ifIXsr10test_utilsE35device_test_enabled_for_warp_size_vIXT2_EEEvE4typeEPT_PT0_S4_,"axG",@progbits,_Z33head_segmented_warp_reduce_kernelIihLj64ELj4EENSt9enable_ifIXsr10test_utilsE35device_test_enabled_for_warp_size_vIXT2_EEEvE4typeEPT_PT0_S4_,comdat
.Lfunc_end187:
	.size	_Z33head_segmented_warp_reduce_kernelIihLj64ELj4EENSt9enable_ifIXsr10test_utilsE35device_test_enabled_for_warp_size_vIXT2_EEEvE4typeEPT_PT0_S4_, .Lfunc_end187-_Z33head_segmented_warp_reduce_kernelIihLj64ELj4EENSt9enable_ifIXsr10test_utilsE35device_test_enabled_for_warp_size_vIXT2_EEEvE4typeEPT_PT0_S4_
                                        ; -- End function
	.section	.AMDGPU.csdata,"",@progbits
; Kernel info:
; codeLenInByte = 284
; NumSgprs: 14
; NumVgprs: 11
; NumAgprs: 0
; TotalNumVgprs: 11
; ScratchSize: 0
; MemoryBound: 0
; FloatMode: 240
; IeeeMode: 1
; LDSByteSize: 0 bytes/workgroup (compile time only)
; SGPRBlocks: 1
; VGPRBlocks: 1
; NumSGPRsForWavesPerEU: 14
; NumVGPRsForWavesPerEU: 11
; AccumOffset: 12
; Occupancy: 8
; WaveLimiterHint : 0
; COMPUTE_PGM_RSRC2:SCRATCH_EN: 0
; COMPUTE_PGM_RSRC2:USER_SGPR: 6
; COMPUTE_PGM_RSRC2:TRAP_HANDLER: 0
; COMPUTE_PGM_RSRC2:TGID_X_EN: 1
; COMPUTE_PGM_RSRC2:TGID_Y_EN: 0
; COMPUTE_PGM_RSRC2:TGID_Z_EN: 0
; COMPUTE_PGM_RSRC2:TIDIG_COMP_CNT: 0
; COMPUTE_PGM_RSRC3_GFX90A:ACCUM_OFFSET: 2
; COMPUTE_PGM_RSRC3_GFX90A:TG_SPLIT: 0
	.section	.text._Z33head_segmented_warp_reduce_kernelIihLj32ELj2EENSt9enable_ifIXsr10test_utilsE35device_test_enabled_for_warp_size_vIXT2_EEEvE4typeEPT_PT0_S4_,"axG",@progbits,_Z33head_segmented_warp_reduce_kernelIihLj32ELj2EENSt9enable_ifIXsr10test_utilsE35device_test_enabled_for_warp_size_vIXT2_EEEvE4typeEPT_PT0_S4_,comdat
	.protected	_Z33head_segmented_warp_reduce_kernelIihLj32ELj2EENSt9enable_ifIXsr10test_utilsE35device_test_enabled_for_warp_size_vIXT2_EEEvE4typeEPT_PT0_S4_ ; -- Begin function _Z33head_segmented_warp_reduce_kernelIihLj32ELj2EENSt9enable_ifIXsr10test_utilsE35device_test_enabled_for_warp_size_vIXT2_EEEvE4typeEPT_PT0_S4_
	.globl	_Z33head_segmented_warp_reduce_kernelIihLj32ELj2EENSt9enable_ifIXsr10test_utilsE35device_test_enabled_for_warp_size_vIXT2_EEEvE4typeEPT_PT0_S4_
	.p2align	8
	.type	_Z33head_segmented_warp_reduce_kernelIihLj32ELj2EENSt9enable_ifIXsr10test_utilsE35device_test_enabled_for_warp_size_vIXT2_EEEvE4typeEPT_PT0_S4_,@function
_Z33head_segmented_warp_reduce_kernelIihLj32ELj2EENSt9enable_ifIXsr10test_utilsE35device_test_enabled_for_warp_size_vIXT2_EEEvE4typeEPT_PT0_S4_: ; @_Z33head_segmented_warp_reduce_kernelIihLj32ELj2EENSt9enable_ifIXsr10test_utilsE35device_test_enabled_for_warp_size_vIXT2_EEEvE4typeEPT_PT0_S4_
; %bb.0:
	s_load_dword s7, s[4:5], 0x24
	s_load_dwordx4 s[0:3], s[4:5], 0x0
	s_load_dwordx2 s[8:9], s[4:5], 0x10
	v_mov_b32_e32 v1, 0
	s_waitcnt lgkmcnt(0)
	s_and_b32 s4, s7, 0xffff
	s_mul_i32 s6, s6, s4
	v_add_u32_e32 v0, s6, v0
	v_lshlrev_b64 v[2:3], 2, v[0:1]
	global_load_ubyte v4, v0, s[2:3]
	v_mov_b32_e32 v1, s1
	v_add_co_u32_e32 v0, vcc, s0, v2
	v_addc_co_u32_e32 v1, vcc, v1, v3, vcc
	global_load_dword v5, v[0:1], off
	v_mbcnt_lo_u32_b32 v0, -1, 0
	v_mbcnt_hi_u32_b32 v6, -1, v0
	v_lshlrev_b64 v[0:1], v6, -1
	v_and_b32_e32 v7, 0x7e, v6
	v_and_b32_e32 v8, 1, v6
	v_lshl_or_b32 v6, v6, 2, 4
	v_mov_b32_e32 v9, s9
	s_waitcnt vmcnt(1)
	v_cmp_ne_u16_e32 vcc, 0, v4
	s_lshr_b64 s[0:1], vcc, 1
	v_and_b32_e32 v1, s1, v1
	v_and_b32_e32 v0, s0, v0
	v_lshrrev_b64 v[0:1], v7, v[0:1]
	v_or_b32_e32 v0, 2, v0
	s_waitcnt vmcnt(0)
	ds_bpermute_b32 v4, v6, v5
	v_ffbl_b32_e32 v1, v1
	v_add_u32_e32 v1, 32, v1
	v_ffbl_b32_e32 v0, v0
	v_min_u32_e32 v0, v0, v1
	v_cmp_lt_u32_e32 vcc, v8, v0
	s_waitcnt lgkmcnt(0)
	v_cndmask_b32_e32 v0, 0, v4, vcc
	v_add_u32_e32 v4, v0, v5
	v_add_co_u32_e32 v0, vcc, s8, v2
	v_addc_co_u32_e32 v1, vcc, v9, v3, vcc
	global_store_dword v[0:1], v4, off
	s_endpgm
	.section	.rodata,"a",@progbits
	.p2align	6, 0x0
	.amdhsa_kernel _Z33head_segmented_warp_reduce_kernelIihLj32ELj2EENSt9enable_ifIXsr10test_utilsE35device_test_enabled_for_warp_size_vIXT2_EEEvE4typeEPT_PT0_S4_
		.amdhsa_group_segment_fixed_size 0
		.amdhsa_private_segment_fixed_size 0
		.amdhsa_kernarg_size 280
		.amdhsa_user_sgpr_count 6
		.amdhsa_user_sgpr_private_segment_buffer 1
		.amdhsa_user_sgpr_dispatch_ptr 0
		.amdhsa_user_sgpr_queue_ptr 0
		.amdhsa_user_sgpr_kernarg_segment_ptr 1
		.amdhsa_user_sgpr_dispatch_id 0
		.amdhsa_user_sgpr_flat_scratch_init 0
		.amdhsa_user_sgpr_kernarg_preload_length 0
		.amdhsa_user_sgpr_kernarg_preload_offset 0
		.amdhsa_user_sgpr_private_segment_size 0
		.amdhsa_uses_dynamic_stack 0
		.amdhsa_system_sgpr_private_segment_wavefront_offset 0
		.amdhsa_system_sgpr_workgroup_id_x 1
		.amdhsa_system_sgpr_workgroup_id_y 0
		.amdhsa_system_sgpr_workgroup_id_z 0
		.amdhsa_system_sgpr_workgroup_info 0
		.amdhsa_system_vgpr_workitem_id 0
		.amdhsa_next_free_vgpr 10
		.amdhsa_next_free_sgpr 10
		.amdhsa_accum_offset 12
		.amdhsa_reserve_vcc 1
		.amdhsa_reserve_flat_scratch 0
		.amdhsa_float_round_mode_32 0
		.amdhsa_float_round_mode_16_64 0
		.amdhsa_float_denorm_mode_32 3
		.amdhsa_float_denorm_mode_16_64 3
		.amdhsa_dx10_clamp 1
		.amdhsa_ieee_mode 1
		.amdhsa_fp16_overflow 0
		.amdhsa_tg_split 0
		.amdhsa_exception_fp_ieee_invalid_op 0
		.amdhsa_exception_fp_denorm_src 0
		.amdhsa_exception_fp_ieee_div_zero 0
		.amdhsa_exception_fp_ieee_overflow 0
		.amdhsa_exception_fp_ieee_underflow 0
		.amdhsa_exception_fp_ieee_inexact 0
		.amdhsa_exception_int_div_zero 0
	.end_amdhsa_kernel
	.section	.text._Z33head_segmented_warp_reduce_kernelIihLj32ELj2EENSt9enable_ifIXsr10test_utilsE35device_test_enabled_for_warp_size_vIXT2_EEEvE4typeEPT_PT0_S4_,"axG",@progbits,_Z33head_segmented_warp_reduce_kernelIihLj32ELj2EENSt9enable_ifIXsr10test_utilsE35device_test_enabled_for_warp_size_vIXT2_EEEvE4typeEPT_PT0_S4_,comdat
.Lfunc_end188:
	.size	_Z33head_segmented_warp_reduce_kernelIihLj32ELj2EENSt9enable_ifIXsr10test_utilsE35device_test_enabled_for_warp_size_vIXT2_EEEvE4typeEPT_PT0_S4_, .Lfunc_end188-_Z33head_segmented_warp_reduce_kernelIihLj32ELj2EENSt9enable_ifIXsr10test_utilsE35device_test_enabled_for_warp_size_vIXT2_EEEvE4typeEPT_PT0_S4_
                                        ; -- End function
	.section	.AMDGPU.csdata,"",@progbits
; Kernel info:
; codeLenInByte = 228
; NumSgprs: 14
; NumVgprs: 10
; NumAgprs: 0
; TotalNumVgprs: 10
; ScratchSize: 0
; MemoryBound: 0
; FloatMode: 240
; IeeeMode: 1
; LDSByteSize: 0 bytes/workgroup (compile time only)
; SGPRBlocks: 1
; VGPRBlocks: 1
; NumSGPRsForWavesPerEU: 14
; NumVGPRsForWavesPerEU: 10
; AccumOffset: 12
; Occupancy: 8
; WaveLimiterHint : 0
; COMPUTE_PGM_RSRC2:SCRATCH_EN: 0
; COMPUTE_PGM_RSRC2:USER_SGPR: 6
; COMPUTE_PGM_RSRC2:TRAP_HANDLER: 0
; COMPUTE_PGM_RSRC2:TGID_X_EN: 1
; COMPUTE_PGM_RSRC2:TGID_Y_EN: 0
; COMPUTE_PGM_RSRC2:TGID_Z_EN: 0
; COMPUTE_PGM_RSRC2:TIDIG_COMP_CNT: 0
; COMPUTE_PGM_RSRC3_GFX90A:ACCUM_OFFSET: 2
; COMPUTE_PGM_RSRC3_GFX90A:TG_SPLIT: 0
	.section	.text._Z33head_segmented_warp_reduce_kernelIihLj64ELj2EENSt9enable_ifIXsr10test_utilsE35device_test_enabled_for_warp_size_vIXT2_EEEvE4typeEPT_PT0_S4_,"axG",@progbits,_Z33head_segmented_warp_reduce_kernelIihLj64ELj2EENSt9enable_ifIXsr10test_utilsE35device_test_enabled_for_warp_size_vIXT2_EEEvE4typeEPT_PT0_S4_,comdat
	.protected	_Z33head_segmented_warp_reduce_kernelIihLj64ELj2EENSt9enable_ifIXsr10test_utilsE35device_test_enabled_for_warp_size_vIXT2_EEEvE4typeEPT_PT0_S4_ ; -- Begin function _Z33head_segmented_warp_reduce_kernelIihLj64ELj2EENSt9enable_ifIXsr10test_utilsE35device_test_enabled_for_warp_size_vIXT2_EEEvE4typeEPT_PT0_S4_
	.globl	_Z33head_segmented_warp_reduce_kernelIihLj64ELj2EENSt9enable_ifIXsr10test_utilsE35device_test_enabled_for_warp_size_vIXT2_EEEvE4typeEPT_PT0_S4_
	.p2align	8
	.type	_Z33head_segmented_warp_reduce_kernelIihLj64ELj2EENSt9enable_ifIXsr10test_utilsE35device_test_enabled_for_warp_size_vIXT2_EEEvE4typeEPT_PT0_S4_,@function
_Z33head_segmented_warp_reduce_kernelIihLj64ELj2EENSt9enable_ifIXsr10test_utilsE35device_test_enabled_for_warp_size_vIXT2_EEEvE4typeEPT_PT0_S4_: ; @_Z33head_segmented_warp_reduce_kernelIihLj64ELj2EENSt9enable_ifIXsr10test_utilsE35device_test_enabled_for_warp_size_vIXT2_EEEvE4typeEPT_PT0_S4_
; %bb.0:
	s_load_dword s7, s[4:5], 0x24
	s_load_dwordx4 s[0:3], s[4:5], 0x0
	s_load_dwordx2 s[8:9], s[4:5], 0x10
	v_mov_b32_e32 v1, 0
	s_waitcnt lgkmcnt(0)
	s_and_b32 s4, s7, 0xffff
	s_mul_i32 s6, s6, s4
	v_add_u32_e32 v0, s6, v0
	v_lshlrev_b64 v[2:3], 2, v[0:1]
	global_load_ubyte v4, v0, s[2:3]
	v_mov_b32_e32 v1, s1
	v_add_co_u32_e32 v0, vcc, s0, v2
	v_addc_co_u32_e32 v1, vcc, v1, v3, vcc
	global_load_dword v5, v[0:1], off
	v_mbcnt_lo_u32_b32 v0, -1, 0
	v_mbcnt_hi_u32_b32 v6, -1, v0
	v_lshlrev_b64 v[0:1], v6, -1
	v_and_b32_e32 v7, 0x7e, v6
	v_and_b32_e32 v8, 1, v6
	v_lshl_or_b32 v6, v6, 2, 4
	v_mov_b32_e32 v9, s9
	s_waitcnt vmcnt(1)
	v_cmp_ne_u16_e32 vcc, 0, v4
	s_lshr_b64 s[0:1], vcc, 1
	v_and_b32_e32 v1, s1, v1
	v_and_b32_e32 v0, s0, v0
	v_lshrrev_b64 v[0:1], v7, v[0:1]
	v_or_b32_e32 v0, 2, v0
	s_waitcnt vmcnt(0)
	ds_bpermute_b32 v4, v6, v5
	v_ffbl_b32_e32 v1, v1
	v_add_u32_e32 v1, 32, v1
	v_ffbl_b32_e32 v0, v0
	v_min_u32_e32 v0, v0, v1
	v_cmp_lt_u32_e32 vcc, v8, v0
	s_waitcnt lgkmcnt(0)
	v_cndmask_b32_e32 v0, 0, v4, vcc
	v_add_u32_e32 v4, v0, v5
	v_add_co_u32_e32 v0, vcc, s8, v2
	v_addc_co_u32_e32 v1, vcc, v9, v3, vcc
	global_store_dword v[0:1], v4, off
	s_endpgm
	.section	.rodata,"a",@progbits
	.p2align	6, 0x0
	.amdhsa_kernel _Z33head_segmented_warp_reduce_kernelIihLj64ELj2EENSt9enable_ifIXsr10test_utilsE35device_test_enabled_for_warp_size_vIXT2_EEEvE4typeEPT_PT0_S4_
		.amdhsa_group_segment_fixed_size 0
		.amdhsa_private_segment_fixed_size 0
		.amdhsa_kernarg_size 280
		.amdhsa_user_sgpr_count 6
		.amdhsa_user_sgpr_private_segment_buffer 1
		.amdhsa_user_sgpr_dispatch_ptr 0
		.amdhsa_user_sgpr_queue_ptr 0
		.amdhsa_user_sgpr_kernarg_segment_ptr 1
		.amdhsa_user_sgpr_dispatch_id 0
		.amdhsa_user_sgpr_flat_scratch_init 0
		.amdhsa_user_sgpr_kernarg_preload_length 0
		.amdhsa_user_sgpr_kernarg_preload_offset 0
		.amdhsa_user_sgpr_private_segment_size 0
		.amdhsa_uses_dynamic_stack 0
		.amdhsa_system_sgpr_private_segment_wavefront_offset 0
		.amdhsa_system_sgpr_workgroup_id_x 1
		.amdhsa_system_sgpr_workgroup_id_y 0
		.amdhsa_system_sgpr_workgroup_id_z 0
		.amdhsa_system_sgpr_workgroup_info 0
		.amdhsa_system_vgpr_workitem_id 0
		.amdhsa_next_free_vgpr 10
		.amdhsa_next_free_sgpr 10
		.amdhsa_accum_offset 12
		.amdhsa_reserve_vcc 1
		.amdhsa_reserve_flat_scratch 0
		.amdhsa_float_round_mode_32 0
		.amdhsa_float_round_mode_16_64 0
		.amdhsa_float_denorm_mode_32 3
		.amdhsa_float_denorm_mode_16_64 3
		.amdhsa_dx10_clamp 1
		.amdhsa_ieee_mode 1
		.amdhsa_fp16_overflow 0
		.amdhsa_tg_split 0
		.amdhsa_exception_fp_ieee_invalid_op 0
		.amdhsa_exception_fp_denorm_src 0
		.amdhsa_exception_fp_ieee_div_zero 0
		.amdhsa_exception_fp_ieee_overflow 0
		.amdhsa_exception_fp_ieee_underflow 0
		.amdhsa_exception_fp_ieee_inexact 0
		.amdhsa_exception_int_div_zero 0
	.end_amdhsa_kernel
	.section	.text._Z33head_segmented_warp_reduce_kernelIihLj64ELj2EENSt9enable_ifIXsr10test_utilsE35device_test_enabled_for_warp_size_vIXT2_EEEvE4typeEPT_PT0_S4_,"axG",@progbits,_Z33head_segmented_warp_reduce_kernelIihLj64ELj2EENSt9enable_ifIXsr10test_utilsE35device_test_enabled_for_warp_size_vIXT2_EEEvE4typeEPT_PT0_S4_,comdat
.Lfunc_end189:
	.size	_Z33head_segmented_warp_reduce_kernelIihLj64ELj2EENSt9enable_ifIXsr10test_utilsE35device_test_enabled_for_warp_size_vIXT2_EEEvE4typeEPT_PT0_S4_, .Lfunc_end189-_Z33head_segmented_warp_reduce_kernelIihLj64ELj2EENSt9enable_ifIXsr10test_utilsE35device_test_enabled_for_warp_size_vIXT2_EEEvE4typeEPT_PT0_S4_
                                        ; -- End function
	.section	.AMDGPU.csdata,"",@progbits
; Kernel info:
; codeLenInByte = 228
; NumSgprs: 14
; NumVgprs: 10
; NumAgprs: 0
; TotalNumVgprs: 10
; ScratchSize: 0
; MemoryBound: 0
; FloatMode: 240
; IeeeMode: 1
; LDSByteSize: 0 bytes/workgroup (compile time only)
; SGPRBlocks: 1
; VGPRBlocks: 1
; NumSGPRsForWavesPerEU: 14
; NumVGPRsForWavesPerEU: 10
; AccumOffset: 12
; Occupancy: 8
; WaveLimiterHint : 0
; COMPUTE_PGM_RSRC2:SCRATCH_EN: 0
; COMPUTE_PGM_RSRC2:USER_SGPR: 6
; COMPUTE_PGM_RSRC2:TRAP_HANDLER: 0
; COMPUTE_PGM_RSRC2:TGID_X_EN: 1
; COMPUTE_PGM_RSRC2:TGID_Y_EN: 0
; COMPUTE_PGM_RSRC2:TGID_Z_EN: 0
; COMPUTE_PGM_RSRC2:TIDIG_COMP_CNT: 0
; COMPUTE_PGM_RSRC3_GFX90A:ACCUM_OFFSET: 2
; COMPUTE_PGM_RSRC3_GFX90A:TG_SPLIT: 0
	.section	.text._Z33head_segmented_warp_reduce_kernelIihLj32ELj1EENSt9enable_ifIXsr10test_utilsE35device_test_enabled_for_warp_size_vIXT2_EEEvE4typeEPT_PT0_S4_,"axG",@progbits,_Z33head_segmented_warp_reduce_kernelIihLj32ELj1EENSt9enable_ifIXsr10test_utilsE35device_test_enabled_for_warp_size_vIXT2_EEEvE4typeEPT_PT0_S4_,comdat
	.protected	_Z33head_segmented_warp_reduce_kernelIihLj32ELj1EENSt9enable_ifIXsr10test_utilsE35device_test_enabled_for_warp_size_vIXT2_EEEvE4typeEPT_PT0_S4_ ; -- Begin function _Z33head_segmented_warp_reduce_kernelIihLj32ELj1EENSt9enable_ifIXsr10test_utilsE35device_test_enabled_for_warp_size_vIXT2_EEEvE4typeEPT_PT0_S4_
	.globl	_Z33head_segmented_warp_reduce_kernelIihLj32ELj1EENSt9enable_ifIXsr10test_utilsE35device_test_enabled_for_warp_size_vIXT2_EEEvE4typeEPT_PT0_S4_
	.p2align	8
	.type	_Z33head_segmented_warp_reduce_kernelIihLj32ELj1EENSt9enable_ifIXsr10test_utilsE35device_test_enabled_for_warp_size_vIXT2_EEEvE4typeEPT_PT0_S4_,@function
_Z33head_segmented_warp_reduce_kernelIihLj32ELj1EENSt9enable_ifIXsr10test_utilsE35device_test_enabled_for_warp_size_vIXT2_EEEvE4typeEPT_PT0_S4_: ; @_Z33head_segmented_warp_reduce_kernelIihLj32ELj1EENSt9enable_ifIXsr10test_utilsE35device_test_enabled_for_warp_size_vIXT2_EEEvE4typeEPT_PT0_S4_
; %bb.0:
	s_load_dword s7, s[4:5], 0x24
	s_load_dwordx2 s[0:1], s[4:5], 0x0
	s_load_dwordx2 s[2:3], s[4:5], 0x10
	v_mov_b32_e32 v1, 0
	s_waitcnt lgkmcnt(0)
	s_and_b32 s4, s7, 0xffff
	s_mul_i32 s6, s6, s4
	v_add_u32_e32 v0, s6, v0
	v_lshlrev_b64 v[0:1], 2, v[0:1]
	v_mov_b32_e32 v3, s1
	v_add_co_u32_e32 v2, vcc, s0, v0
	v_addc_co_u32_e32 v3, vcc, v3, v1, vcc
	global_load_dword v2, v[2:3], off
	v_mov_b32_e32 v3, s3
	v_add_co_u32_e32 v0, vcc, s2, v0
	v_addc_co_u32_e32 v1, vcc, v3, v1, vcc
	s_waitcnt vmcnt(0)
	global_store_dword v[0:1], v2, off
	s_endpgm
	.section	.rodata,"a",@progbits
	.p2align	6, 0x0
	.amdhsa_kernel _Z33head_segmented_warp_reduce_kernelIihLj32ELj1EENSt9enable_ifIXsr10test_utilsE35device_test_enabled_for_warp_size_vIXT2_EEEvE4typeEPT_PT0_S4_
		.amdhsa_group_segment_fixed_size 0
		.amdhsa_private_segment_fixed_size 0
		.amdhsa_kernarg_size 280
		.amdhsa_user_sgpr_count 6
		.amdhsa_user_sgpr_private_segment_buffer 1
		.amdhsa_user_sgpr_dispatch_ptr 0
		.amdhsa_user_sgpr_queue_ptr 0
		.amdhsa_user_sgpr_kernarg_segment_ptr 1
		.amdhsa_user_sgpr_dispatch_id 0
		.amdhsa_user_sgpr_flat_scratch_init 0
		.amdhsa_user_sgpr_kernarg_preload_length 0
		.amdhsa_user_sgpr_kernarg_preload_offset 0
		.amdhsa_user_sgpr_private_segment_size 0
		.amdhsa_uses_dynamic_stack 0
		.amdhsa_system_sgpr_private_segment_wavefront_offset 0
		.amdhsa_system_sgpr_workgroup_id_x 1
		.amdhsa_system_sgpr_workgroup_id_y 0
		.amdhsa_system_sgpr_workgroup_id_z 0
		.amdhsa_system_sgpr_workgroup_info 0
		.amdhsa_system_vgpr_workitem_id 0
		.amdhsa_next_free_vgpr 4
		.amdhsa_next_free_sgpr 8
		.amdhsa_accum_offset 4
		.amdhsa_reserve_vcc 1
		.amdhsa_reserve_flat_scratch 0
		.amdhsa_float_round_mode_32 0
		.amdhsa_float_round_mode_16_64 0
		.amdhsa_float_denorm_mode_32 3
		.amdhsa_float_denorm_mode_16_64 3
		.amdhsa_dx10_clamp 1
		.amdhsa_ieee_mode 1
		.amdhsa_fp16_overflow 0
		.amdhsa_tg_split 0
		.amdhsa_exception_fp_ieee_invalid_op 0
		.amdhsa_exception_fp_denorm_src 0
		.amdhsa_exception_fp_ieee_div_zero 0
		.amdhsa_exception_fp_ieee_overflow 0
		.amdhsa_exception_fp_ieee_underflow 0
		.amdhsa_exception_fp_ieee_inexact 0
		.amdhsa_exception_int_div_zero 0
	.end_amdhsa_kernel
	.section	.text._Z33head_segmented_warp_reduce_kernelIihLj32ELj1EENSt9enable_ifIXsr10test_utilsE35device_test_enabled_for_warp_size_vIXT2_EEEvE4typeEPT_PT0_S4_,"axG",@progbits,_Z33head_segmented_warp_reduce_kernelIihLj32ELj1EENSt9enable_ifIXsr10test_utilsE35device_test_enabled_for_warp_size_vIXT2_EEEvE4typeEPT_PT0_S4_,comdat
.Lfunc_end190:
	.size	_Z33head_segmented_warp_reduce_kernelIihLj32ELj1EENSt9enable_ifIXsr10test_utilsE35device_test_enabled_for_warp_size_vIXT2_EEEvE4typeEPT_PT0_S4_, .Lfunc_end190-_Z33head_segmented_warp_reduce_kernelIihLj32ELj1EENSt9enable_ifIXsr10test_utilsE35device_test_enabled_for_warp_size_vIXT2_EEEvE4typeEPT_PT0_S4_
                                        ; -- End function
	.section	.AMDGPU.csdata,"",@progbits
; Kernel info:
; codeLenInByte = 104
; NumSgprs: 12
; NumVgprs: 4
; NumAgprs: 0
; TotalNumVgprs: 4
; ScratchSize: 0
; MemoryBound: 0
; FloatMode: 240
; IeeeMode: 1
; LDSByteSize: 0 bytes/workgroup (compile time only)
; SGPRBlocks: 1
; VGPRBlocks: 0
; NumSGPRsForWavesPerEU: 12
; NumVGPRsForWavesPerEU: 4
; AccumOffset: 4
; Occupancy: 8
; WaveLimiterHint : 0
; COMPUTE_PGM_RSRC2:SCRATCH_EN: 0
; COMPUTE_PGM_RSRC2:USER_SGPR: 6
; COMPUTE_PGM_RSRC2:TRAP_HANDLER: 0
; COMPUTE_PGM_RSRC2:TGID_X_EN: 1
; COMPUTE_PGM_RSRC2:TGID_Y_EN: 0
; COMPUTE_PGM_RSRC2:TGID_Z_EN: 0
; COMPUTE_PGM_RSRC2:TIDIG_COMP_CNT: 0
; COMPUTE_PGM_RSRC3_GFX90A:ACCUM_OFFSET: 0
; COMPUTE_PGM_RSRC3_GFX90A:TG_SPLIT: 0
	.section	.text._Z33head_segmented_warp_reduce_kernelIihLj64ELj1EENSt9enable_ifIXsr10test_utilsE35device_test_enabled_for_warp_size_vIXT2_EEEvE4typeEPT_PT0_S4_,"axG",@progbits,_Z33head_segmented_warp_reduce_kernelIihLj64ELj1EENSt9enable_ifIXsr10test_utilsE35device_test_enabled_for_warp_size_vIXT2_EEEvE4typeEPT_PT0_S4_,comdat
	.protected	_Z33head_segmented_warp_reduce_kernelIihLj64ELj1EENSt9enable_ifIXsr10test_utilsE35device_test_enabled_for_warp_size_vIXT2_EEEvE4typeEPT_PT0_S4_ ; -- Begin function _Z33head_segmented_warp_reduce_kernelIihLj64ELj1EENSt9enable_ifIXsr10test_utilsE35device_test_enabled_for_warp_size_vIXT2_EEEvE4typeEPT_PT0_S4_
	.globl	_Z33head_segmented_warp_reduce_kernelIihLj64ELj1EENSt9enable_ifIXsr10test_utilsE35device_test_enabled_for_warp_size_vIXT2_EEEvE4typeEPT_PT0_S4_
	.p2align	8
	.type	_Z33head_segmented_warp_reduce_kernelIihLj64ELj1EENSt9enable_ifIXsr10test_utilsE35device_test_enabled_for_warp_size_vIXT2_EEEvE4typeEPT_PT0_S4_,@function
_Z33head_segmented_warp_reduce_kernelIihLj64ELj1EENSt9enable_ifIXsr10test_utilsE35device_test_enabled_for_warp_size_vIXT2_EEEvE4typeEPT_PT0_S4_: ; @_Z33head_segmented_warp_reduce_kernelIihLj64ELj1EENSt9enable_ifIXsr10test_utilsE35device_test_enabled_for_warp_size_vIXT2_EEEvE4typeEPT_PT0_S4_
; %bb.0:
	s_load_dword s7, s[4:5], 0x24
	s_load_dwordx2 s[0:1], s[4:5], 0x0
	s_load_dwordx2 s[2:3], s[4:5], 0x10
	v_mov_b32_e32 v1, 0
	s_waitcnt lgkmcnt(0)
	s_and_b32 s4, s7, 0xffff
	s_mul_i32 s6, s6, s4
	v_add_u32_e32 v0, s6, v0
	v_lshlrev_b64 v[0:1], 2, v[0:1]
	v_mov_b32_e32 v3, s1
	v_add_co_u32_e32 v2, vcc, s0, v0
	v_addc_co_u32_e32 v3, vcc, v3, v1, vcc
	global_load_dword v2, v[2:3], off
	v_mov_b32_e32 v3, s3
	v_add_co_u32_e32 v0, vcc, s2, v0
	v_addc_co_u32_e32 v1, vcc, v3, v1, vcc
	s_waitcnt vmcnt(0)
	global_store_dword v[0:1], v2, off
	s_endpgm
	.section	.rodata,"a",@progbits
	.p2align	6, 0x0
	.amdhsa_kernel _Z33head_segmented_warp_reduce_kernelIihLj64ELj1EENSt9enable_ifIXsr10test_utilsE35device_test_enabled_for_warp_size_vIXT2_EEEvE4typeEPT_PT0_S4_
		.amdhsa_group_segment_fixed_size 0
		.amdhsa_private_segment_fixed_size 0
		.amdhsa_kernarg_size 280
		.amdhsa_user_sgpr_count 6
		.amdhsa_user_sgpr_private_segment_buffer 1
		.amdhsa_user_sgpr_dispatch_ptr 0
		.amdhsa_user_sgpr_queue_ptr 0
		.amdhsa_user_sgpr_kernarg_segment_ptr 1
		.amdhsa_user_sgpr_dispatch_id 0
		.amdhsa_user_sgpr_flat_scratch_init 0
		.amdhsa_user_sgpr_kernarg_preload_length 0
		.amdhsa_user_sgpr_kernarg_preload_offset 0
		.amdhsa_user_sgpr_private_segment_size 0
		.amdhsa_uses_dynamic_stack 0
		.amdhsa_system_sgpr_private_segment_wavefront_offset 0
		.amdhsa_system_sgpr_workgroup_id_x 1
		.amdhsa_system_sgpr_workgroup_id_y 0
		.amdhsa_system_sgpr_workgroup_id_z 0
		.amdhsa_system_sgpr_workgroup_info 0
		.amdhsa_system_vgpr_workitem_id 0
		.amdhsa_next_free_vgpr 4
		.amdhsa_next_free_sgpr 8
		.amdhsa_accum_offset 4
		.amdhsa_reserve_vcc 1
		.amdhsa_reserve_flat_scratch 0
		.amdhsa_float_round_mode_32 0
		.amdhsa_float_round_mode_16_64 0
		.amdhsa_float_denorm_mode_32 3
		.amdhsa_float_denorm_mode_16_64 3
		.amdhsa_dx10_clamp 1
		.amdhsa_ieee_mode 1
		.amdhsa_fp16_overflow 0
		.amdhsa_tg_split 0
		.amdhsa_exception_fp_ieee_invalid_op 0
		.amdhsa_exception_fp_denorm_src 0
		.amdhsa_exception_fp_ieee_div_zero 0
		.amdhsa_exception_fp_ieee_overflow 0
		.amdhsa_exception_fp_ieee_underflow 0
		.amdhsa_exception_fp_ieee_inexact 0
		.amdhsa_exception_int_div_zero 0
	.end_amdhsa_kernel
	.section	.text._Z33head_segmented_warp_reduce_kernelIihLj64ELj1EENSt9enable_ifIXsr10test_utilsE35device_test_enabled_for_warp_size_vIXT2_EEEvE4typeEPT_PT0_S4_,"axG",@progbits,_Z33head_segmented_warp_reduce_kernelIihLj64ELj1EENSt9enable_ifIXsr10test_utilsE35device_test_enabled_for_warp_size_vIXT2_EEEvE4typeEPT_PT0_S4_,comdat
.Lfunc_end191:
	.size	_Z33head_segmented_warp_reduce_kernelIihLj64ELj1EENSt9enable_ifIXsr10test_utilsE35device_test_enabled_for_warp_size_vIXT2_EEEvE4typeEPT_PT0_S4_, .Lfunc_end191-_Z33head_segmented_warp_reduce_kernelIihLj64ELj1EENSt9enable_ifIXsr10test_utilsE35device_test_enabled_for_warp_size_vIXT2_EEEvE4typeEPT_PT0_S4_
                                        ; -- End function
	.section	.AMDGPU.csdata,"",@progbits
; Kernel info:
; codeLenInByte = 104
; NumSgprs: 12
; NumVgprs: 4
; NumAgprs: 0
; TotalNumVgprs: 4
; ScratchSize: 0
; MemoryBound: 0
; FloatMode: 240
; IeeeMode: 1
; LDSByteSize: 0 bytes/workgroup (compile time only)
; SGPRBlocks: 1
; VGPRBlocks: 0
; NumSGPRsForWavesPerEU: 12
; NumVGPRsForWavesPerEU: 4
; AccumOffset: 4
; Occupancy: 8
; WaveLimiterHint : 0
; COMPUTE_PGM_RSRC2:SCRATCH_EN: 0
; COMPUTE_PGM_RSRC2:USER_SGPR: 6
; COMPUTE_PGM_RSRC2:TRAP_HANDLER: 0
; COMPUTE_PGM_RSRC2:TGID_X_EN: 1
; COMPUTE_PGM_RSRC2:TGID_Y_EN: 0
; COMPUTE_PGM_RSRC2:TGID_Z_EN: 0
; COMPUTE_PGM_RSRC2:TIDIG_COMP_CNT: 0
; COMPUTE_PGM_RSRC3_GFX90A:ACCUM_OFFSET: 0
; COMPUTE_PGM_RSRC3_GFX90A:TG_SPLIT: 0
	.section	.text._Z33tail_segmented_warp_reduce_kernelIfhLj1ELj61EENSt9enable_ifIXsr10test_utilsE35device_test_enabled_for_warp_size_vIXT2_EEEvE4typeEPT_PT0_S4_,"axG",@progbits,_Z33tail_segmented_warp_reduce_kernelIfhLj1ELj61EENSt9enable_ifIXsr10test_utilsE35device_test_enabled_for_warp_size_vIXT2_EEEvE4typeEPT_PT0_S4_,comdat
	.protected	_Z33tail_segmented_warp_reduce_kernelIfhLj1ELj61EENSt9enable_ifIXsr10test_utilsE35device_test_enabled_for_warp_size_vIXT2_EEEvE4typeEPT_PT0_S4_ ; -- Begin function _Z33tail_segmented_warp_reduce_kernelIfhLj1ELj61EENSt9enable_ifIXsr10test_utilsE35device_test_enabled_for_warp_size_vIXT2_EEEvE4typeEPT_PT0_S4_
	.globl	_Z33tail_segmented_warp_reduce_kernelIfhLj1ELj61EENSt9enable_ifIXsr10test_utilsE35device_test_enabled_for_warp_size_vIXT2_EEEvE4typeEPT_PT0_S4_
	.p2align	8
	.type	_Z33tail_segmented_warp_reduce_kernelIfhLj1ELj61EENSt9enable_ifIXsr10test_utilsE35device_test_enabled_for_warp_size_vIXT2_EEEvE4typeEPT_PT0_S4_,@function
_Z33tail_segmented_warp_reduce_kernelIfhLj1ELj61EENSt9enable_ifIXsr10test_utilsE35device_test_enabled_for_warp_size_vIXT2_EEEvE4typeEPT_PT0_S4_: ; @_Z33tail_segmented_warp_reduce_kernelIfhLj1ELj61EENSt9enable_ifIXsr10test_utilsE35device_test_enabled_for_warp_size_vIXT2_EEEvE4typeEPT_PT0_S4_
; %bb.0:
	s_load_dword s0, s[4:5], 0x24
	s_load_dwordx4 s[8:11], s[4:5], 0x0
	s_mov_b32 s1, 0
	s_mov_b32 s2, 0x4325c54
	s_waitcnt lgkmcnt(0)
	s_and_b32 s0, s0, 0xffff
	s_mul_i32 s0, s6, s0
	v_mov_b32_e32 v0, s0
	global_load_ubyte v1, v0, s[10:11]
	v_mbcnt_lo_u32_b32 v0, -1, 0
	v_mbcnt_hi_u32_b32 v0, -1, v0
	v_mul_hi_u32 v4, v0, s2
	v_lshlrev_b64 v[2:3], v0, -1
	s_lshl_b64 s[0:1], s[0:1], 2
	s_add_u32 s2, s8, s0
	v_mul_u32_u24_e32 v4, 61, v4
	s_addc_u32 s3, s9, s1
	s_load_dword s2, s[2:3], 0x0
	v_sub_u32_e32 v5, v0, v4
	v_readfirstlane_b32 s6, v5
	v_lshlrev_b32_e32 v0, 2, v5
	s_waitcnt lgkmcnt(0)
	v_mov_b32_e32 v6, s2
	ds_write_b32 v0, v6
	; wave barrier
	s_waitcnt vmcnt(0)
	v_cmp_ne_u16_e32 vcc, 0, v1
	v_and_b32_e32 v3, vcc_hi, v3
	v_and_b32_e32 v2, vcc_lo, v2
	v_lshrrev_b64 v[2:3], v4, v[2:3]
	v_or_b32_e32 v1, 0x10000000, v3
	v_ffbl_b32_e32 v1, v1
	v_ffbl_b32_e32 v2, v2
	v_add_u32_e32 v1, 32, v1
	v_min_u32_e32 v1, v2, v1
	v_cmp_ge_u32_e32 vcc, v5, v1
	v_readfirstlane_b32 s7, v1
	s_and_b64 s[8:9], vcc, exec
	s_cbranch_scc1 .LBB192_2
; %bb.1:
	ds_read_b32 v1, v0 offset:4
	s_waitcnt lgkmcnt(0)
	v_add_f32_e32 v1, s2, v1
	s_branch .LBB192_3
.LBB192_2:
	v_mov_b32_e32 v1, s2
.LBB192_3:
	s_add_i32 s2, s6, 2
	s_cmp_gt_u32 s2, s7
	; wave barrier
	ds_write_b32 v0, v1
	; wave barrier
	s_cbranch_scc1 .LBB192_5
; %bb.4:
	ds_read_b32 v2, v0 offset:8
	s_waitcnt lgkmcnt(0)
	v_add_f32_e32 v1, v1, v2
.LBB192_5:
	s_add_i32 s2, s6, 4
	s_cmp_gt_u32 s2, s7
	; wave barrier
	ds_write_b32 v0, v1
	; wave barrier
	s_cbranch_scc1 .LBB192_7
; %bb.6:
	ds_read_b32 v2, v0 offset:16
	s_waitcnt lgkmcnt(0)
	v_add_f32_e32 v1, v1, v2
.LBB192_7:
	s_load_dwordx2 s[2:3], s[4:5], 0x10
	s_add_i32 s4, s6, 8
	s_cmp_gt_u32 s4, s7
	; wave barrier
	ds_write_b32 v0, v1
	; wave barrier
	s_cbranch_scc1 .LBB192_9
; %bb.8:
	ds_read_b32 v2, v0 offset:32
	s_waitcnt lgkmcnt(0)
	v_add_f32_e32 v1, v1, v2
.LBB192_9:
	s_add_i32 s4, s6, 16
	s_cmp_gt_u32 s4, s7
	; wave barrier
	ds_write_b32 v0, v1
	; wave barrier
	s_cbranch_scc1 .LBB192_11
; %bb.10:
	ds_read_b32 v2, v0 offset:64
	s_waitcnt lgkmcnt(0)
	v_add_f32_e32 v1, v1, v2
.LBB192_11:
	s_add_i32 s6, s6, 32
	s_cmp_gt_u32 s6, s7
	; wave barrier
	ds_write_b32 v0, v1
	; wave barrier
	s_cbranch_scc1 .LBB192_13
; %bb.12:
	ds_read_b32 v0, v0 offset:128
	s_waitcnt lgkmcnt(0)
	v_add_f32_e32 v1, v1, v0
.LBB192_13:
	s_waitcnt lgkmcnt(0)
	s_add_u32 s0, s2, s0
	s_addc_u32 s1, s3, s1
	v_mov_b32_e32 v0, 0
	; wave barrier
	global_store_dword v0, v1, s[0:1]
	s_endpgm
	.section	.rodata,"a",@progbits
	.p2align	6, 0x0
	.amdhsa_kernel _Z33tail_segmented_warp_reduce_kernelIfhLj1ELj61EENSt9enable_ifIXsr10test_utilsE35device_test_enabled_for_warp_size_vIXT2_EEEvE4typeEPT_PT0_S4_
		.amdhsa_group_segment_fixed_size 244
		.amdhsa_private_segment_fixed_size 0
		.amdhsa_kernarg_size 280
		.amdhsa_user_sgpr_count 6
		.amdhsa_user_sgpr_private_segment_buffer 1
		.amdhsa_user_sgpr_dispatch_ptr 0
		.amdhsa_user_sgpr_queue_ptr 0
		.amdhsa_user_sgpr_kernarg_segment_ptr 1
		.amdhsa_user_sgpr_dispatch_id 0
		.amdhsa_user_sgpr_flat_scratch_init 0
		.amdhsa_user_sgpr_kernarg_preload_length 0
		.amdhsa_user_sgpr_kernarg_preload_offset 0
		.amdhsa_user_sgpr_private_segment_size 0
		.amdhsa_uses_dynamic_stack 0
		.amdhsa_system_sgpr_private_segment_wavefront_offset 0
		.amdhsa_system_sgpr_workgroup_id_x 1
		.amdhsa_system_sgpr_workgroup_id_y 0
		.amdhsa_system_sgpr_workgroup_id_z 0
		.amdhsa_system_sgpr_workgroup_info 0
		.amdhsa_system_vgpr_workitem_id 0
		.amdhsa_next_free_vgpr 7
		.amdhsa_next_free_sgpr 12
		.amdhsa_accum_offset 8
		.amdhsa_reserve_vcc 1
		.amdhsa_reserve_flat_scratch 0
		.amdhsa_float_round_mode_32 0
		.amdhsa_float_round_mode_16_64 0
		.amdhsa_float_denorm_mode_32 3
		.amdhsa_float_denorm_mode_16_64 3
		.amdhsa_dx10_clamp 1
		.amdhsa_ieee_mode 1
		.amdhsa_fp16_overflow 0
		.amdhsa_tg_split 0
		.amdhsa_exception_fp_ieee_invalid_op 0
		.amdhsa_exception_fp_denorm_src 0
		.amdhsa_exception_fp_ieee_div_zero 0
		.amdhsa_exception_fp_ieee_overflow 0
		.amdhsa_exception_fp_ieee_underflow 0
		.amdhsa_exception_fp_ieee_inexact 0
		.amdhsa_exception_int_div_zero 0
	.end_amdhsa_kernel
	.section	.text._Z33tail_segmented_warp_reduce_kernelIfhLj1ELj61EENSt9enable_ifIXsr10test_utilsE35device_test_enabled_for_warp_size_vIXT2_EEEvE4typeEPT_PT0_S4_,"axG",@progbits,_Z33tail_segmented_warp_reduce_kernelIfhLj1ELj61EENSt9enable_ifIXsr10test_utilsE35device_test_enabled_for_warp_size_vIXT2_EEEvE4typeEPT_PT0_S4_,comdat
.Lfunc_end192:
	.size	_Z33tail_segmented_warp_reduce_kernelIfhLj1ELj61EENSt9enable_ifIXsr10test_utilsE35device_test_enabled_for_warp_size_vIXT2_EEEvE4typeEPT_PT0_S4_, .Lfunc_end192-_Z33tail_segmented_warp_reduce_kernelIfhLj1ELj61EENSt9enable_ifIXsr10test_utilsE35device_test_enabled_for_warp_size_vIXT2_EEEvE4typeEPT_PT0_S4_
                                        ; -- End function
	.section	.AMDGPU.csdata,"",@progbits
; Kernel info:
; codeLenInByte = 444
; NumSgprs: 16
; NumVgprs: 7
; NumAgprs: 0
; TotalNumVgprs: 7
; ScratchSize: 0
; MemoryBound: 0
; FloatMode: 240
; IeeeMode: 1
; LDSByteSize: 244 bytes/workgroup (compile time only)
; SGPRBlocks: 1
; VGPRBlocks: 0
; NumSGPRsForWavesPerEU: 16
; NumVGPRsForWavesPerEU: 7
; AccumOffset: 8
; Occupancy: 8
; WaveLimiterHint : 0
; COMPUTE_PGM_RSRC2:SCRATCH_EN: 0
; COMPUTE_PGM_RSRC2:USER_SGPR: 6
; COMPUTE_PGM_RSRC2:TRAP_HANDLER: 0
; COMPUTE_PGM_RSRC2:TGID_X_EN: 1
; COMPUTE_PGM_RSRC2:TGID_Y_EN: 0
; COMPUTE_PGM_RSRC2:TGID_Z_EN: 0
; COMPUTE_PGM_RSRC2:TIDIG_COMP_CNT: 0
; COMPUTE_PGM_RSRC3_GFX90A:ACCUM_OFFSET: 1
; COMPUTE_PGM_RSRC3_GFX90A:TG_SPLIT: 0
	.section	.text._Z33tail_segmented_warp_reduce_kernelIfhLj61ELj61EENSt9enable_ifIXsr10test_utilsE35device_test_enabled_for_warp_size_vIXT2_EEEvE4typeEPT_PT0_S4_,"axG",@progbits,_Z33tail_segmented_warp_reduce_kernelIfhLj61ELj61EENSt9enable_ifIXsr10test_utilsE35device_test_enabled_for_warp_size_vIXT2_EEEvE4typeEPT_PT0_S4_,comdat
	.protected	_Z33tail_segmented_warp_reduce_kernelIfhLj61ELj61EENSt9enable_ifIXsr10test_utilsE35device_test_enabled_for_warp_size_vIXT2_EEEvE4typeEPT_PT0_S4_ ; -- Begin function _Z33tail_segmented_warp_reduce_kernelIfhLj61ELj61EENSt9enable_ifIXsr10test_utilsE35device_test_enabled_for_warp_size_vIXT2_EEEvE4typeEPT_PT0_S4_
	.globl	_Z33tail_segmented_warp_reduce_kernelIfhLj61ELj61EENSt9enable_ifIXsr10test_utilsE35device_test_enabled_for_warp_size_vIXT2_EEEvE4typeEPT_PT0_S4_
	.p2align	8
	.type	_Z33tail_segmented_warp_reduce_kernelIfhLj61ELj61EENSt9enable_ifIXsr10test_utilsE35device_test_enabled_for_warp_size_vIXT2_EEEvE4typeEPT_PT0_S4_,@function
_Z33tail_segmented_warp_reduce_kernelIfhLj61ELj61EENSt9enable_ifIXsr10test_utilsE35device_test_enabled_for_warp_size_vIXT2_EEEvE4typeEPT_PT0_S4_: ; @_Z33tail_segmented_warp_reduce_kernelIfhLj61ELj61EENSt9enable_ifIXsr10test_utilsE35device_test_enabled_for_warp_size_vIXT2_EEEvE4typeEPT_PT0_S4_
; %bb.0:
	s_load_dword s7, s[4:5], 0x24
	s_load_dwordx4 s[0:3], s[4:5], 0x0
	v_mov_b32_e32 v5, 0
	s_waitcnt lgkmcnt(0)
	s_and_b32 s7, s7, 0xffff
	s_mul_i32 s6, s6, s7
	v_add_u32_e32 v4, s6, v0
	global_load_ubyte v8, v4, s[2:3]
	v_lshlrev_b64 v[2:3], 2, v[4:5]
	v_mov_b32_e32 v1, s1
	v_add_co_u32_e32 v4, vcc, s0, v2
	v_addc_co_u32_e32 v5, vcc, v1, v3, vcc
	global_load_dword v1, v[4:5], off
	v_mbcnt_lo_u32_b32 v4, -1, 0
	s_mov_b32 s0, 0x4325c54
	v_mbcnt_hi_u32_b32 v4, -1, v4
	v_mul_hi_u32 v5, v4, s0
	v_lshlrev_b64 v[6:7], v4, -1
	v_mul_u32_u24_e32 v5, 61, v5
	v_sub_u32_e32 v4, v4, v5
	v_mul_u32_u24_e32 v0, 0x433, v0
	s_movk_i32 s1, 0xf4
	v_lshrrev_b32_e32 v0, 16, v0
	v_lshlrev_b32_e32 v9, 2, v4
	v_mad_u32_u24 v0, v0, s1, v9
	s_waitcnt vmcnt(1)
	v_cmp_ne_u16_e32 vcc, 0, v8
	v_and_b32_e32 v7, vcc_hi, v7
	v_and_b32_e32 v6, vcc_lo, v6
	v_lshrrev_b64 v[6:7], v5, v[6:7]
	v_or_b32_e32 v5, 0x10000000, v7
	v_ffbl_b32_e32 v5, v5
	v_ffbl_b32_e32 v6, v6
	v_add_u32_e32 v5, 32, v5
	v_min_u32_e32 v5, v6, v5
	v_cmp_lt_u32_e32 vcc, v4, v5
	s_waitcnt vmcnt(0)
	ds_write_b32 v0, v1
	; wave barrier
	s_and_saveexec_b64 s[0:1], vcc
	s_cbranch_execz .LBB193_2
; %bb.1:
	ds_read_b32 v6, v0 offset:4
	s_waitcnt lgkmcnt(0)
	v_add_f32_e32 v1, v1, v6
.LBB193_2:
	s_or_b64 exec, exec, s[0:1]
	v_add_u32_e32 v6, 2, v4
	v_cmp_le_u32_e32 vcc, v6, v5
	; wave barrier
	ds_write_b32 v0, v1
	; wave barrier
	s_and_saveexec_b64 s[0:1], vcc
	s_cbranch_execz .LBB193_4
; %bb.3:
	ds_read_b32 v6, v0 offset:8
	s_waitcnt lgkmcnt(0)
	v_add_f32_e32 v1, v1, v6
.LBB193_4:
	s_or_b64 exec, exec, s[0:1]
	v_add_u32_e32 v6, 4, v4
	v_cmp_le_u32_e32 vcc, v6, v5
	; wave barrier
	ds_write_b32 v0, v1
	; wave barrier
	s_and_saveexec_b64 s[0:1], vcc
	s_cbranch_execz .LBB193_6
; %bb.5:
	ds_read_b32 v6, v0 offset:16
	s_waitcnt lgkmcnt(0)
	v_add_f32_e32 v1, v1, v6
.LBB193_6:
	s_or_b64 exec, exec, s[0:1]
	s_load_dwordx2 s[0:1], s[4:5], 0x10
	v_add_u32_e32 v6, 8, v4
	v_cmp_le_u32_e32 vcc, v6, v5
	; wave barrier
	ds_write_b32 v0, v1
	; wave barrier
	s_and_saveexec_b64 s[2:3], vcc
	s_cbranch_execz .LBB193_8
; %bb.7:
	ds_read_b32 v6, v0 offset:32
	s_waitcnt lgkmcnt(0)
	v_add_f32_e32 v1, v1, v6
.LBB193_8:
	s_or_b64 exec, exec, s[2:3]
	v_add_u32_e32 v6, 16, v4
	v_cmp_le_u32_e32 vcc, v6, v5
	; wave barrier
	ds_write_b32 v0, v1
	; wave barrier
	s_and_saveexec_b64 s[2:3], vcc
	s_cbranch_execz .LBB193_10
; %bb.9:
	ds_read_b32 v6, v0 offset:64
	s_waitcnt lgkmcnt(0)
	v_add_f32_e32 v1, v1, v6
.LBB193_10:
	s_or_b64 exec, exec, s[2:3]
	;; [unrolled: 13-line block ×3, first 2 shown]
	s_waitcnt lgkmcnt(0)
	v_mov_b32_e32 v0, s1
	v_add_co_u32_e32 v2, vcc, s0, v2
	v_addc_co_u32_e32 v3, vcc, v0, v3, vcc
	; wave barrier
	global_store_dword v[2:3], v1, off
	s_endpgm
	.section	.rodata,"a",@progbits
	.p2align	6, 0x0
	.amdhsa_kernel _Z33tail_segmented_warp_reduce_kernelIfhLj61ELj61EENSt9enable_ifIXsr10test_utilsE35device_test_enabled_for_warp_size_vIXT2_EEEvE4typeEPT_PT0_S4_
		.amdhsa_group_segment_fixed_size 244
		.amdhsa_private_segment_fixed_size 0
		.amdhsa_kernarg_size 280
		.amdhsa_user_sgpr_count 6
		.amdhsa_user_sgpr_private_segment_buffer 1
		.amdhsa_user_sgpr_dispatch_ptr 0
		.amdhsa_user_sgpr_queue_ptr 0
		.amdhsa_user_sgpr_kernarg_segment_ptr 1
		.amdhsa_user_sgpr_dispatch_id 0
		.amdhsa_user_sgpr_flat_scratch_init 0
		.amdhsa_user_sgpr_kernarg_preload_length 0
		.amdhsa_user_sgpr_kernarg_preload_offset 0
		.amdhsa_user_sgpr_private_segment_size 0
		.amdhsa_uses_dynamic_stack 0
		.amdhsa_system_sgpr_private_segment_wavefront_offset 0
		.amdhsa_system_sgpr_workgroup_id_x 1
		.amdhsa_system_sgpr_workgroup_id_y 0
		.amdhsa_system_sgpr_workgroup_id_z 0
		.amdhsa_system_sgpr_workgroup_info 0
		.amdhsa_system_vgpr_workitem_id 0
		.amdhsa_next_free_vgpr 10
		.amdhsa_next_free_sgpr 8
		.amdhsa_accum_offset 12
		.amdhsa_reserve_vcc 1
		.amdhsa_reserve_flat_scratch 0
		.amdhsa_float_round_mode_32 0
		.amdhsa_float_round_mode_16_64 0
		.amdhsa_float_denorm_mode_32 3
		.amdhsa_float_denorm_mode_16_64 3
		.amdhsa_dx10_clamp 1
		.amdhsa_ieee_mode 1
		.amdhsa_fp16_overflow 0
		.amdhsa_tg_split 0
		.amdhsa_exception_fp_ieee_invalid_op 0
		.amdhsa_exception_fp_denorm_src 0
		.amdhsa_exception_fp_ieee_div_zero 0
		.amdhsa_exception_fp_ieee_overflow 0
		.amdhsa_exception_fp_ieee_underflow 0
		.amdhsa_exception_fp_ieee_inexact 0
		.amdhsa_exception_int_div_zero 0
	.end_amdhsa_kernel
	.section	.text._Z33tail_segmented_warp_reduce_kernelIfhLj61ELj61EENSt9enable_ifIXsr10test_utilsE35device_test_enabled_for_warp_size_vIXT2_EEEvE4typeEPT_PT0_S4_,"axG",@progbits,_Z33tail_segmented_warp_reduce_kernelIfhLj61ELj61EENSt9enable_ifIXsr10test_utilsE35device_test_enabled_for_warp_size_vIXT2_EEEvE4typeEPT_PT0_S4_,comdat
.Lfunc_end193:
	.size	_Z33tail_segmented_warp_reduce_kernelIfhLj61ELj61EENSt9enable_ifIXsr10test_utilsE35device_test_enabled_for_warp_size_vIXT2_EEEvE4typeEPT_PT0_S4_, .Lfunc_end193-_Z33tail_segmented_warp_reduce_kernelIfhLj61ELj61EENSt9enable_ifIXsr10test_utilsE35device_test_enabled_for_warp_size_vIXT2_EEEvE4typeEPT_PT0_S4_
                                        ; -- End function
	.section	.AMDGPU.csdata,"",@progbits
; Kernel info:
; codeLenInByte = 500
; NumSgprs: 12
; NumVgprs: 10
; NumAgprs: 0
; TotalNumVgprs: 10
; ScratchSize: 0
; MemoryBound: 0
; FloatMode: 240
; IeeeMode: 1
; LDSByteSize: 244 bytes/workgroup (compile time only)
; SGPRBlocks: 1
; VGPRBlocks: 1
; NumSGPRsForWavesPerEU: 12
; NumVGPRsForWavesPerEU: 10
; AccumOffset: 12
; Occupancy: 8
; WaveLimiterHint : 0
; COMPUTE_PGM_RSRC2:SCRATCH_EN: 0
; COMPUTE_PGM_RSRC2:USER_SGPR: 6
; COMPUTE_PGM_RSRC2:TRAP_HANDLER: 0
; COMPUTE_PGM_RSRC2:TGID_X_EN: 1
; COMPUTE_PGM_RSRC2:TGID_Y_EN: 0
; COMPUTE_PGM_RSRC2:TGID_Z_EN: 0
; COMPUTE_PGM_RSRC2:TIDIG_COMP_CNT: 0
; COMPUTE_PGM_RSRC3_GFX90A:ACCUM_OFFSET: 2
; COMPUTE_PGM_RSRC3_GFX90A:TG_SPLIT: 0
	.section	.text._Z33tail_segmented_warp_reduce_kernelIfhLj1ELj37EENSt9enable_ifIXsr10test_utilsE35device_test_enabled_for_warp_size_vIXT2_EEEvE4typeEPT_PT0_S4_,"axG",@progbits,_Z33tail_segmented_warp_reduce_kernelIfhLj1ELj37EENSt9enable_ifIXsr10test_utilsE35device_test_enabled_for_warp_size_vIXT2_EEEvE4typeEPT_PT0_S4_,comdat
	.protected	_Z33tail_segmented_warp_reduce_kernelIfhLj1ELj37EENSt9enable_ifIXsr10test_utilsE35device_test_enabled_for_warp_size_vIXT2_EEEvE4typeEPT_PT0_S4_ ; -- Begin function _Z33tail_segmented_warp_reduce_kernelIfhLj1ELj37EENSt9enable_ifIXsr10test_utilsE35device_test_enabled_for_warp_size_vIXT2_EEEvE4typeEPT_PT0_S4_
	.globl	_Z33tail_segmented_warp_reduce_kernelIfhLj1ELj37EENSt9enable_ifIXsr10test_utilsE35device_test_enabled_for_warp_size_vIXT2_EEEvE4typeEPT_PT0_S4_
	.p2align	8
	.type	_Z33tail_segmented_warp_reduce_kernelIfhLj1ELj37EENSt9enable_ifIXsr10test_utilsE35device_test_enabled_for_warp_size_vIXT2_EEEvE4typeEPT_PT0_S4_,@function
_Z33tail_segmented_warp_reduce_kernelIfhLj1ELj37EENSt9enable_ifIXsr10test_utilsE35device_test_enabled_for_warp_size_vIXT2_EEEvE4typeEPT_PT0_S4_: ; @_Z33tail_segmented_warp_reduce_kernelIfhLj1ELj37EENSt9enable_ifIXsr10test_utilsE35device_test_enabled_for_warp_size_vIXT2_EEEvE4typeEPT_PT0_S4_
; %bb.0:
	s_load_dword s0, s[4:5], 0x24
	s_load_dwordx4 s[8:11], s[4:5], 0x0
	s_mov_b32 s1, 0
	s_mov_b32 s2, 0x6eb3e46
	s_waitcnt lgkmcnt(0)
	s_and_b32 s0, s0, 0xffff
	s_mul_i32 s0, s6, s0
	v_mov_b32_e32 v0, s0
	global_load_ubyte v1, v0, s[10:11]
	v_mbcnt_lo_u32_b32 v0, -1, 0
	v_mbcnt_hi_u32_b32 v0, -1, v0
	v_mul_hi_u32 v4, v0, s2
	v_lshlrev_b64 v[2:3], v0, -1
	s_lshl_b64 s[0:1], s[0:1], 2
	s_add_u32 s2, s8, s0
	v_mul_u32_u24_e32 v4, 37, v4
	s_addc_u32 s3, s9, s1
	s_load_dword s2, s[2:3], 0x0
	v_sub_u32_e32 v5, v0, v4
	v_readfirstlane_b32 s6, v5
	v_lshlrev_b32_e32 v0, 2, v5
	s_waitcnt lgkmcnt(0)
	v_mov_b32_e32 v6, s2
	ds_write_b32 v0, v6
	; wave barrier
	s_waitcnt vmcnt(0)
	v_cmp_ne_u16_e32 vcc, 0, v1
	v_and_b32_e32 v3, vcc_hi, v3
	v_and_b32_e32 v2, vcc_lo, v2
	v_lshrrev_b64 v[2:3], v4, v[2:3]
	v_or_b32_e32 v1, 16, v3
	v_ffbl_b32_e32 v1, v1
	v_ffbl_b32_e32 v2, v2
	v_add_u32_e32 v1, 32, v1
	v_min_u32_e32 v1, v2, v1
	v_cmp_ge_u32_e32 vcc, v5, v1
	v_readfirstlane_b32 s7, v1
	s_and_b64 s[8:9], vcc, exec
	s_cbranch_scc1 .LBB194_2
; %bb.1:
	ds_read_b32 v1, v0 offset:4
	s_waitcnt lgkmcnt(0)
	v_add_f32_e32 v1, s2, v1
	s_branch .LBB194_3
.LBB194_2:
	v_mov_b32_e32 v1, s2
.LBB194_3:
	s_add_i32 s2, s6, 2
	s_cmp_gt_u32 s2, s7
	; wave barrier
	ds_write_b32 v0, v1
	; wave barrier
	s_cbranch_scc1 .LBB194_5
; %bb.4:
	ds_read_b32 v2, v0 offset:8
	s_waitcnt lgkmcnt(0)
	v_add_f32_e32 v1, v1, v2
.LBB194_5:
	s_add_i32 s2, s6, 4
	s_cmp_gt_u32 s2, s7
	; wave barrier
	ds_write_b32 v0, v1
	; wave barrier
	s_cbranch_scc1 .LBB194_7
; %bb.6:
	ds_read_b32 v2, v0 offset:16
	s_waitcnt lgkmcnt(0)
	v_add_f32_e32 v1, v1, v2
.LBB194_7:
	s_load_dwordx2 s[2:3], s[4:5], 0x10
	s_add_i32 s4, s6, 8
	s_cmp_gt_u32 s4, s7
	; wave barrier
	ds_write_b32 v0, v1
	; wave barrier
	s_cbranch_scc1 .LBB194_9
; %bb.8:
	ds_read_b32 v2, v0 offset:32
	s_waitcnt lgkmcnt(0)
	v_add_f32_e32 v1, v1, v2
.LBB194_9:
	s_add_i32 s4, s6, 16
	s_cmp_gt_u32 s4, s7
	; wave barrier
	ds_write_b32 v0, v1
	; wave barrier
	s_cbranch_scc1 .LBB194_11
; %bb.10:
	ds_read_b32 v2, v0 offset:64
	s_waitcnt lgkmcnt(0)
	v_add_f32_e32 v1, v1, v2
.LBB194_11:
	;; [unrolled: 11-line block ×3, first 2 shown]
	s_waitcnt lgkmcnt(0)
	s_add_u32 s0, s2, s0
	s_addc_u32 s1, s3, s1
	v_mov_b32_e32 v0, 0
	; wave barrier
	global_store_dword v0, v1, s[0:1]
	s_endpgm
	.section	.rodata,"a",@progbits
	.p2align	6, 0x0
	.amdhsa_kernel _Z33tail_segmented_warp_reduce_kernelIfhLj1ELj37EENSt9enable_ifIXsr10test_utilsE35device_test_enabled_for_warp_size_vIXT2_EEEvE4typeEPT_PT0_S4_
		.amdhsa_group_segment_fixed_size 148
		.amdhsa_private_segment_fixed_size 0
		.amdhsa_kernarg_size 280
		.amdhsa_user_sgpr_count 6
		.amdhsa_user_sgpr_private_segment_buffer 1
		.amdhsa_user_sgpr_dispatch_ptr 0
		.amdhsa_user_sgpr_queue_ptr 0
		.amdhsa_user_sgpr_kernarg_segment_ptr 1
		.amdhsa_user_sgpr_dispatch_id 0
		.amdhsa_user_sgpr_flat_scratch_init 0
		.amdhsa_user_sgpr_kernarg_preload_length 0
		.amdhsa_user_sgpr_kernarg_preload_offset 0
		.amdhsa_user_sgpr_private_segment_size 0
		.amdhsa_uses_dynamic_stack 0
		.amdhsa_system_sgpr_private_segment_wavefront_offset 0
		.amdhsa_system_sgpr_workgroup_id_x 1
		.amdhsa_system_sgpr_workgroup_id_y 0
		.amdhsa_system_sgpr_workgroup_id_z 0
		.amdhsa_system_sgpr_workgroup_info 0
		.amdhsa_system_vgpr_workitem_id 0
		.amdhsa_next_free_vgpr 7
		.amdhsa_next_free_sgpr 12
		.amdhsa_accum_offset 8
		.amdhsa_reserve_vcc 1
		.amdhsa_reserve_flat_scratch 0
		.amdhsa_float_round_mode_32 0
		.amdhsa_float_round_mode_16_64 0
		.amdhsa_float_denorm_mode_32 3
		.amdhsa_float_denorm_mode_16_64 3
		.amdhsa_dx10_clamp 1
		.amdhsa_ieee_mode 1
		.amdhsa_fp16_overflow 0
		.amdhsa_tg_split 0
		.amdhsa_exception_fp_ieee_invalid_op 0
		.amdhsa_exception_fp_denorm_src 0
		.amdhsa_exception_fp_ieee_div_zero 0
		.amdhsa_exception_fp_ieee_overflow 0
		.amdhsa_exception_fp_ieee_underflow 0
		.amdhsa_exception_fp_ieee_inexact 0
		.amdhsa_exception_int_div_zero 0
	.end_amdhsa_kernel
	.section	.text._Z33tail_segmented_warp_reduce_kernelIfhLj1ELj37EENSt9enable_ifIXsr10test_utilsE35device_test_enabled_for_warp_size_vIXT2_EEEvE4typeEPT_PT0_S4_,"axG",@progbits,_Z33tail_segmented_warp_reduce_kernelIfhLj1ELj37EENSt9enable_ifIXsr10test_utilsE35device_test_enabled_for_warp_size_vIXT2_EEEvE4typeEPT_PT0_S4_,comdat
.Lfunc_end194:
	.size	_Z33tail_segmented_warp_reduce_kernelIfhLj1ELj37EENSt9enable_ifIXsr10test_utilsE35device_test_enabled_for_warp_size_vIXT2_EEEvE4typeEPT_PT0_S4_, .Lfunc_end194-_Z33tail_segmented_warp_reduce_kernelIfhLj1ELj37EENSt9enable_ifIXsr10test_utilsE35device_test_enabled_for_warp_size_vIXT2_EEEvE4typeEPT_PT0_S4_
                                        ; -- End function
	.section	.AMDGPU.csdata,"",@progbits
; Kernel info:
; codeLenInByte = 440
; NumSgprs: 16
; NumVgprs: 7
; NumAgprs: 0
; TotalNumVgprs: 7
; ScratchSize: 0
; MemoryBound: 0
; FloatMode: 240
; IeeeMode: 1
; LDSByteSize: 148 bytes/workgroup (compile time only)
; SGPRBlocks: 1
; VGPRBlocks: 0
; NumSGPRsForWavesPerEU: 16
; NumVGPRsForWavesPerEU: 7
; AccumOffset: 8
; Occupancy: 8
; WaveLimiterHint : 0
; COMPUTE_PGM_RSRC2:SCRATCH_EN: 0
; COMPUTE_PGM_RSRC2:USER_SGPR: 6
; COMPUTE_PGM_RSRC2:TRAP_HANDLER: 0
; COMPUTE_PGM_RSRC2:TGID_X_EN: 1
; COMPUTE_PGM_RSRC2:TGID_Y_EN: 0
; COMPUTE_PGM_RSRC2:TGID_Z_EN: 0
; COMPUTE_PGM_RSRC2:TIDIG_COMP_CNT: 0
; COMPUTE_PGM_RSRC3_GFX90A:ACCUM_OFFSET: 1
; COMPUTE_PGM_RSRC3_GFX90A:TG_SPLIT: 0
	.section	.text._Z33tail_segmented_warp_reduce_kernelIfhLj37ELj37EENSt9enable_ifIXsr10test_utilsE35device_test_enabled_for_warp_size_vIXT2_EEEvE4typeEPT_PT0_S4_,"axG",@progbits,_Z33tail_segmented_warp_reduce_kernelIfhLj37ELj37EENSt9enable_ifIXsr10test_utilsE35device_test_enabled_for_warp_size_vIXT2_EEEvE4typeEPT_PT0_S4_,comdat
	.protected	_Z33tail_segmented_warp_reduce_kernelIfhLj37ELj37EENSt9enable_ifIXsr10test_utilsE35device_test_enabled_for_warp_size_vIXT2_EEEvE4typeEPT_PT0_S4_ ; -- Begin function _Z33tail_segmented_warp_reduce_kernelIfhLj37ELj37EENSt9enable_ifIXsr10test_utilsE35device_test_enabled_for_warp_size_vIXT2_EEEvE4typeEPT_PT0_S4_
	.globl	_Z33tail_segmented_warp_reduce_kernelIfhLj37ELj37EENSt9enable_ifIXsr10test_utilsE35device_test_enabled_for_warp_size_vIXT2_EEEvE4typeEPT_PT0_S4_
	.p2align	8
	.type	_Z33tail_segmented_warp_reduce_kernelIfhLj37ELj37EENSt9enable_ifIXsr10test_utilsE35device_test_enabled_for_warp_size_vIXT2_EEEvE4typeEPT_PT0_S4_,@function
_Z33tail_segmented_warp_reduce_kernelIfhLj37ELj37EENSt9enable_ifIXsr10test_utilsE35device_test_enabled_for_warp_size_vIXT2_EEEvE4typeEPT_PT0_S4_: ; @_Z33tail_segmented_warp_reduce_kernelIfhLj37ELj37EENSt9enable_ifIXsr10test_utilsE35device_test_enabled_for_warp_size_vIXT2_EEEvE4typeEPT_PT0_S4_
; %bb.0:
	s_load_dword s7, s[4:5], 0x24
	s_load_dwordx4 s[0:3], s[4:5], 0x0
	v_mov_b32_e32 v5, 0
	s_waitcnt lgkmcnt(0)
	s_and_b32 s7, s7, 0xffff
	s_mul_i32 s6, s6, s7
	v_add_u32_e32 v4, s6, v0
	global_load_ubyte v8, v4, s[2:3]
	v_lshlrev_b64 v[2:3], 2, v[4:5]
	v_mov_b32_e32 v1, s1
	v_add_co_u32_e32 v4, vcc, s0, v2
	v_addc_co_u32_e32 v5, vcc, v1, v3, vcc
	global_load_dword v1, v[4:5], off
	v_mbcnt_lo_u32_b32 v4, -1, 0
	s_mov_b32 s0, 0x6eb3e46
	v_mbcnt_hi_u32_b32 v4, -1, v4
	v_mul_hi_u32 v5, v4, s0
	v_lshlrev_b64 v[6:7], v4, -1
	v_mul_u32_u24_e32 v5, 37, v5
	v_sub_u32_e32 v4, v4, v5
	v_mul_u32_u24_e32 v0, 0x6ec, v0
	s_movk_i32 s1, 0x94
	v_lshrrev_b32_e32 v0, 16, v0
	v_lshlrev_b32_e32 v9, 2, v4
	v_mad_u32_u24 v0, v0, s1, v9
	s_waitcnt vmcnt(1)
	v_cmp_ne_u16_e32 vcc, 0, v8
	v_and_b32_e32 v7, vcc_hi, v7
	v_and_b32_e32 v6, vcc_lo, v6
	v_lshrrev_b64 v[6:7], v5, v[6:7]
	v_or_b32_e32 v5, 16, v7
	v_ffbl_b32_e32 v5, v5
	v_ffbl_b32_e32 v6, v6
	v_add_u32_e32 v5, 32, v5
	v_min_u32_e32 v5, v6, v5
	v_cmp_lt_u32_e32 vcc, v4, v5
	s_waitcnt vmcnt(0)
	ds_write_b32 v0, v1
	; wave barrier
	s_and_saveexec_b64 s[0:1], vcc
	s_cbranch_execz .LBB195_2
; %bb.1:
	ds_read_b32 v6, v0 offset:4
	s_waitcnt lgkmcnt(0)
	v_add_f32_e32 v1, v1, v6
.LBB195_2:
	s_or_b64 exec, exec, s[0:1]
	v_add_u32_e32 v6, 2, v4
	v_cmp_le_u32_e32 vcc, v6, v5
	; wave barrier
	ds_write_b32 v0, v1
	; wave barrier
	s_and_saveexec_b64 s[0:1], vcc
	s_cbranch_execz .LBB195_4
; %bb.3:
	ds_read_b32 v6, v0 offset:8
	s_waitcnt lgkmcnt(0)
	v_add_f32_e32 v1, v1, v6
.LBB195_4:
	s_or_b64 exec, exec, s[0:1]
	v_add_u32_e32 v6, 4, v4
	v_cmp_le_u32_e32 vcc, v6, v5
	; wave barrier
	ds_write_b32 v0, v1
	; wave barrier
	s_and_saveexec_b64 s[0:1], vcc
	s_cbranch_execz .LBB195_6
; %bb.5:
	ds_read_b32 v6, v0 offset:16
	s_waitcnt lgkmcnt(0)
	v_add_f32_e32 v1, v1, v6
.LBB195_6:
	s_or_b64 exec, exec, s[0:1]
	s_load_dwordx2 s[0:1], s[4:5], 0x10
	v_add_u32_e32 v6, 8, v4
	v_cmp_le_u32_e32 vcc, v6, v5
	; wave barrier
	ds_write_b32 v0, v1
	; wave barrier
	s_and_saveexec_b64 s[2:3], vcc
	s_cbranch_execz .LBB195_8
; %bb.7:
	ds_read_b32 v6, v0 offset:32
	s_waitcnt lgkmcnt(0)
	v_add_f32_e32 v1, v1, v6
.LBB195_8:
	s_or_b64 exec, exec, s[2:3]
	v_add_u32_e32 v6, 16, v4
	v_cmp_le_u32_e32 vcc, v6, v5
	; wave barrier
	ds_write_b32 v0, v1
	; wave barrier
	s_and_saveexec_b64 s[2:3], vcc
	s_cbranch_execz .LBB195_10
; %bb.9:
	ds_read_b32 v6, v0 offset:64
	s_waitcnt lgkmcnt(0)
	v_add_f32_e32 v1, v1, v6
.LBB195_10:
	s_or_b64 exec, exec, s[2:3]
	;; [unrolled: 13-line block ×3, first 2 shown]
	s_waitcnt lgkmcnt(0)
	v_mov_b32_e32 v0, s1
	v_add_co_u32_e32 v2, vcc, s0, v2
	v_addc_co_u32_e32 v3, vcc, v0, v3, vcc
	; wave barrier
	global_store_dword v[2:3], v1, off
	s_endpgm
	.section	.rodata,"a",@progbits
	.p2align	6, 0x0
	.amdhsa_kernel _Z33tail_segmented_warp_reduce_kernelIfhLj37ELj37EENSt9enable_ifIXsr10test_utilsE35device_test_enabled_for_warp_size_vIXT2_EEEvE4typeEPT_PT0_S4_
		.amdhsa_group_segment_fixed_size 148
		.amdhsa_private_segment_fixed_size 0
		.amdhsa_kernarg_size 280
		.amdhsa_user_sgpr_count 6
		.amdhsa_user_sgpr_private_segment_buffer 1
		.amdhsa_user_sgpr_dispatch_ptr 0
		.amdhsa_user_sgpr_queue_ptr 0
		.amdhsa_user_sgpr_kernarg_segment_ptr 1
		.amdhsa_user_sgpr_dispatch_id 0
		.amdhsa_user_sgpr_flat_scratch_init 0
		.amdhsa_user_sgpr_kernarg_preload_length 0
		.amdhsa_user_sgpr_kernarg_preload_offset 0
		.amdhsa_user_sgpr_private_segment_size 0
		.amdhsa_uses_dynamic_stack 0
		.amdhsa_system_sgpr_private_segment_wavefront_offset 0
		.amdhsa_system_sgpr_workgroup_id_x 1
		.amdhsa_system_sgpr_workgroup_id_y 0
		.amdhsa_system_sgpr_workgroup_id_z 0
		.amdhsa_system_sgpr_workgroup_info 0
		.amdhsa_system_vgpr_workitem_id 0
		.amdhsa_next_free_vgpr 10
		.amdhsa_next_free_sgpr 8
		.amdhsa_accum_offset 12
		.amdhsa_reserve_vcc 1
		.amdhsa_reserve_flat_scratch 0
		.amdhsa_float_round_mode_32 0
		.amdhsa_float_round_mode_16_64 0
		.amdhsa_float_denorm_mode_32 3
		.amdhsa_float_denorm_mode_16_64 3
		.amdhsa_dx10_clamp 1
		.amdhsa_ieee_mode 1
		.amdhsa_fp16_overflow 0
		.amdhsa_tg_split 0
		.amdhsa_exception_fp_ieee_invalid_op 0
		.amdhsa_exception_fp_denorm_src 0
		.amdhsa_exception_fp_ieee_div_zero 0
		.amdhsa_exception_fp_ieee_overflow 0
		.amdhsa_exception_fp_ieee_underflow 0
		.amdhsa_exception_fp_ieee_inexact 0
		.amdhsa_exception_int_div_zero 0
	.end_amdhsa_kernel
	.section	.text._Z33tail_segmented_warp_reduce_kernelIfhLj37ELj37EENSt9enable_ifIXsr10test_utilsE35device_test_enabled_for_warp_size_vIXT2_EEEvE4typeEPT_PT0_S4_,"axG",@progbits,_Z33tail_segmented_warp_reduce_kernelIfhLj37ELj37EENSt9enable_ifIXsr10test_utilsE35device_test_enabled_for_warp_size_vIXT2_EEEvE4typeEPT_PT0_S4_,comdat
.Lfunc_end195:
	.size	_Z33tail_segmented_warp_reduce_kernelIfhLj37ELj37EENSt9enable_ifIXsr10test_utilsE35device_test_enabled_for_warp_size_vIXT2_EEEvE4typeEPT_PT0_S4_, .Lfunc_end195-_Z33tail_segmented_warp_reduce_kernelIfhLj37ELj37EENSt9enable_ifIXsr10test_utilsE35device_test_enabled_for_warp_size_vIXT2_EEEvE4typeEPT_PT0_S4_
                                        ; -- End function
	.section	.AMDGPU.csdata,"",@progbits
; Kernel info:
; codeLenInByte = 496
; NumSgprs: 12
; NumVgprs: 10
; NumAgprs: 0
; TotalNumVgprs: 10
; ScratchSize: 0
; MemoryBound: 0
; FloatMode: 240
; IeeeMode: 1
; LDSByteSize: 148 bytes/workgroup (compile time only)
; SGPRBlocks: 1
; VGPRBlocks: 1
; NumSGPRsForWavesPerEU: 12
; NumVGPRsForWavesPerEU: 10
; AccumOffset: 12
; Occupancy: 8
; WaveLimiterHint : 0
; COMPUTE_PGM_RSRC2:SCRATCH_EN: 0
; COMPUTE_PGM_RSRC2:USER_SGPR: 6
; COMPUTE_PGM_RSRC2:TRAP_HANDLER: 0
; COMPUTE_PGM_RSRC2:TGID_X_EN: 1
; COMPUTE_PGM_RSRC2:TGID_Y_EN: 0
; COMPUTE_PGM_RSRC2:TGID_Z_EN: 0
; COMPUTE_PGM_RSRC2:TIDIG_COMP_CNT: 0
; COMPUTE_PGM_RSRC3_GFX90A:ACCUM_OFFSET: 2
; COMPUTE_PGM_RSRC3_GFX90A:TG_SPLIT: 0
	.section	.text._Z33tail_segmented_warp_reduce_kernelIfhLj30ELj15EENSt9enable_ifIXsr10test_utilsE35device_test_enabled_for_warp_size_vIXT2_EEEvE4typeEPT_PT0_S4_,"axG",@progbits,_Z33tail_segmented_warp_reduce_kernelIfhLj30ELj15EENSt9enable_ifIXsr10test_utilsE35device_test_enabled_for_warp_size_vIXT2_EEEvE4typeEPT_PT0_S4_,comdat
	.protected	_Z33tail_segmented_warp_reduce_kernelIfhLj30ELj15EENSt9enable_ifIXsr10test_utilsE35device_test_enabled_for_warp_size_vIXT2_EEEvE4typeEPT_PT0_S4_ ; -- Begin function _Z33tail_segmented_warp_reduce_kernelIfhLj30ELj15EENSt9enable_ifIXsr10test_utilsE35device_test_enabled_for_warp_size_vIXT2_EEEvE4typeEPT_PT0_S4_
	.globl	_Z33tail_segmented_warp_reduce_kernelIfhLj30ELj15EENSt9enable_ifIXsr10test_utilsE35device_test_enabled_for_warp_size_vIXT2_EEEvE4typeEPT_PT0_S4_
	.p2align	8
	.type	_Z33tail_segmented_warp_reduce_kernelIfhLj30ELj15EENSt9enable_ifIXsr10test_utilsE35device_test_enabled_for_warp_size_vIXT2_EEEvE4typeEPT_PT0_S4_,@function
_Z33tail_segmented_warp_reduce_kernelIfhLj30ELj15EENSt9enable_ifIXsr10test_utilsE35device_test_enabled_for_warp_size_vIXT2_EEEvE4typeEPT_PT0_S4_: ; @_Z33tail_segmented_warp_reduce_kernelIfhLj30ELj15EENSt9enable_ifIXsr10test_utilsE35device_test_enabled_for_warp_size_vIXT2_EEEvE4typeEPT_PT0_S4_
; %bb.0:
	s_load_dword s7, s[4:5], 0x24
	s_load_dwordx4 s[0:3], s[4:5], 0x0
	v_mov_b32_e32 v5, 0
	s_waitcnt lgkmcnt(0)
	s_and_b32 s7, s7, 0xffff
	s_mul_i32 s6, s6, s7
	v_add_u32_e32 v4, s6, v0
	global_load_ubyte v8, v4, s[2:3]
	v_lshlrev_b64 v[2:3], 2, v[4:5]
	v_mov_b32_e32 v1, s1
	v_add_co_u32_e32 v4, vcc, s0, v2
	v_addc_co_u32_e32 v5, vcc, v1, v3, vcc
	global_load_dword v1, v[4:5], off
	v_mbcnt_lo_u32_b32 v4, -1, 0
	s_mov_b32 s0, 0x11111112
	v_mul_u32_u24_e32 v0, 0x1112, v0
	v_mbcnt_hi_u32_b32 v4, -1, v4
	v_lshrrev_b32_e32 v5, 16, v0
	v_mul_hi_u32 v0, v4, s0
	v_lshlrev_b64 v[6:7], v4, -1
	v_mul_u32_u24_e32 v9, 15, v0
	v_sub_u32_e32 v0, v4, v9
	v_lshlrev_b32_e32 v4, 2, v0
	v_mad_u32_u24 v4, v5, 60, v4
	s_waitcnt vmcnt(1)
	v_cmp_ne_u16_e32 vcc, 0, v8
	v_and_b32_e32 v7, vcc_hi, v7
	v_and_b32_e32 v6, vcc_lo, v6
	v_lshrrev_b64 v[6:7], v9, v[6:7]
	v_or_b32_e32 v5, 0x4000, v6
	v_ffbl_b32_e32 v6, v7
	v_add_u32_e32 v6, 32, v6
	v_ffbl_b32_e32 v5, v5
	v_min_u32_e32 v5, v5, v6
	v_cmp_lt_u32_e32 vcc, v0, v5
	s_waitcnt vmcnt(0)
	ds_write_b32 v4, v1
	; wave barrier
	s_and_saveexec_b64 s[0:1], vcc
	s_cbranch_execz .LBB196_2
; %bb.1:
	ds_read_b32 v6, v4 offset:4
	s_waitcnt lgkmcnt(0)
	v_add_f32_e32 v1, v1, v6
.LBB196_2:
	s_or_b64 exec, exec, s[0:1]
	s_load_dwordx2 s[0:1], s[4:5], 0x10
	v_add_u32_e32 v6, 2, v0
	v_cmp_le_u32_e32 vcc, v6, v5
	; wave barrier
	ds_write_b32 v4, v1
	; wave barrier
	s_and_saveexec_b64 s[2:3], vcc
	s_cbranch_execz .LBB196_4
; %bb.3:
	ds_read_b32 v6, v4 offset:8
	s_waitcnt lgkmcnt(0)
	v_add_f32_e32 v1, v1, v6
.LBB196_4:
	s_or_b64 exec, exec, s[2:3]
	v_add_u32_e32 v6, 4, v0
	v_cmp_le_u32_e32 vcc, v6, v5
	; wave barrier
	ds_write_b32 v4, v1
	; wave barrier
	s_and_saveexec_b64 s[2:3], vcc
	s_cbranch_execz .LBB196_6
; %bb.5:
	ds_read_b32 v6, v4 offset:16
	s_waitcnt lgkmcnt(0)
	v_add_f32_e32 v1, v1, v6
.LBB196_6:
	s_or_b64 exec, exec, s[2:3]
	;; [unrolled: 13-line block ×3, first 2 shown]
	s_waitcnt lgkmcnt(0)
	v_mov_b32_e32 v0, s1
	v_add_co_u32_e32 v2, vcc, s0, v2
	v_addc_co_u32_e32 v3, vcc, v0, v3, vcc
	; wave barrier
	global_store_dword v[2:3], v1, off
	s_endpgm
	.section	.rodata,"a",@progbits
	.p2align	6, 0x0
	.amdhsa_kernel _Z33tail_segmented_warp_reduce_kernelIfhLj30ELj15EENSt9enable_ifIXsr10test_utilsE35device_test_enabled_for_warp_size_vIXT2_EEEvE4typeEPT_PT0_S4_
		.amdhsa_group_segment_fixed_size 120
		.amdhsa_private_segment_fixed_size 0
		.amdhsa_kernarg_size 280
		.amdhsa_user_sgpr_count 6
		.amdhsa_user_sgpr_private_segment_buffer 1
		.amdhsa_user_sgpr_dispatch_ptr 0
		.amdhsa_user_sgpr_queue_ptr 0
		.amdhsa_user_sgpr_kernarg_segment_ptr 1
		.amdhsa_user_sgpr_dispatch_id 0
		.amdhsa_user_sgpr_flat_scratch_init 0
		.amdhsa_user_sgpr_kernarg_preload_length 0
		.amdhsa_user_sgpr_kernarg_preload_offset 0
		.amdhsa_user_sgpr_private_segment_size 0
		.amdhsa_uses_dynamic_stack 0
		.amdhsa_system_sgpr_private_segment_wavefront_offset 0
		.amdhsa_system_sgpr_workgroup_id_x 1
		.amdhsa_system_sgpr_workgroup_id_y 0
		.amdhsa_system_sgpr_workgroup_id_z 0
		.amdhsa_system_sgpr_workgroup_info 0
		.amdhsa_system_vgpr_workitem_id 0
		.amdhsa_next_free_vgpr 10
		.amdhsa_next_free_sgpr 8
		.amdhsa_accum_offset 12
		.amdhsa_reserve_vcc 1
		.amdhsa_reserve_flat_scratch 0
		.amdhsa_float_round_mode_32 0
		.amdhsa_float_round_mode_16_64 0
		.amdhsa_float_denorm_mode_32 3
		.amdhsa_float_denorm_mode_16_64 3
		.amdhsa_dx10_clamp 1
		.amdhsa_ieee_mode 1
		.amdhsa_fp16_overflow 0
		.amdhsa_tg_split 0
		.amdhsa_exception_fp_ieee_invalid_op 0
		.amdhsa_exception_fp_denorm_src 0
		.amdhsa_exception_fp_ieee_div_zero 0
		.amdhsa_exception_fp_ieee_overflow 0
		.amdhsa_exception_fp_ieee_underflow 0
		.amdhsa_exception_fp_ieee_inexact 0
		.amdhsa_exception_int_div_zero 0
	.end_amdhsa_kernel
	.section	.text._Z33tail_segmented_warp_reduce_kernelIfhLj30ELj15EENSt9enable_ifIXsr10test_utilsE35device_test_enabled_for_warp_size_vIXT2_EEEvE4typeEPT_PT0_S4_,"axG",@progbits,_Z33tail_segmented_warp_reduce_kernelIfhLj30ELj15EENSt9enable_ifIXsr10test_utilsE35device_test_enabled_for_warp_size_vIXT2_EEEvE4typeEPT_PT0_S4_,comdat
.Lfunc_end196:
	.size	_Z33tail_segmented_warp_reduce_kernelIfhLj30ELj15EENSt9enable_ifIXsr10test_utilsE35device_test_enabled_for_warp_size_vIXT2_EEEvE4typeEPT_PT0_S4_, .Lfunc_end196-_Z33tail_segmented_warp_reduce_kernelIfhLj30ELj15EENSt9enable_ifIXsr10test_utilsE35device_test_enabled_for_warp_size_vIXT2_EEEvE4typeEPT_PT0_S4_
                                        ; -- End function
	.section	.AMDGPU.csdata,"",@progbits
; Kernel info:
; codeLenInByte = 408
; NumSgprs: 12
; NumVgprs: 10
; NumAgprs: 0
; TotalNumVgprs: 10
; ScratchSize: 0
; MemoryBound: 0
; FloatMode: 240
; IeeeMode: 1
; LDSByteSize: 120 bytes/workgroup (compile time only)
; SGPRBlocks: 1
; VGPRBlocks: 1
; NumSGPRsForWavesPerEU: 12
; NumVGPRsForWavesPerEU: 10
; AccumOffset: 12
; Occupancy: 8
; WaveLimiterHint : 0
; COMPUTE_PGM_RSRC2:SCRATCH_EN: 0
; COMPUTE_PGM_RSRC2:USER_SGPR: 6
; COMPUTE_PGM_RSRC2:TRAP_HANDLER: 0
; COMPUTE_PGM_RSRC2:TGID_X_EN: 1
; COMPUTE_PGM_RSRC2:TGID_Y_EN: 0
; COMPUTE_PGM_RSRC2:TGID_Z_EN: 0
; COMPUTE_PGM_RSRC2:TIDIG_COMP_CNT: 0
; COMPUTE_PGM_RSRC3_GFX90A:ACCUM_OFFSET: 2
; COMPUTE_PGM_RSRC3_GFX90A:TG_SPLIT: 0
	.section	.text._Z33tail_segmented_warp_reduce_kernelIfhLj60ELj15EENSt9enable_ifIXsr10test_utilsE35device_test_enabled_for_warp_size_vIXT2_EEEvE4typeEPT_PT0_S4_,"axG",@progbits,_Z33tail_segmented_warp_reduce_kernelIfhLj60ELj15EENSt9enable_ifIXsr10test_utilsE35device_test_enabled_for_warp_size_vIXT2_EEEvE4typeEPT_PT0_S4_,comdat
	.protected	_Z33tail_segmented_warp_reduce_kernelIfhLj60ELj15EENSt9enable_ifIXsr10test_utilsE35device_test_enabled_for_warp_size_vIXT2_EEEvE4typeEPT_PT0_S4_ ; -- Begin function _Z33tail_segmented_warp_reduce_kernelIfhLj60ELj15EENSt9enable_ifIXsr10test_utilsE35device_test_enabled_for_warp_size_vIXT2_EEEvE4typeEPT_PT0_S4_
	.globl	_Z33tail_segmented_warp_reduce_kernelIfhLj60ELj15EENSt9enable_ifIXsr10test_utilsE35device_test_enabled_for_warp_size_vIXT2_EEEvE4typeEPT_PT0_S4_
	.p2align	8
	.type	_Z33tail_segmented_warp_reduce_kernelIfhLj60ELj15EENSt9enable_ifIXsr10test_utilsE35device_test_enabled_for_warp_size_vIXT2_EEEvE4typeEPT_PT0_S4_,@function
_Z33tail_segmented_warp_reduce_kernelIfhLj60ELj15EENSt9enable_ifIXsr10test_utilsE35device_test_enabled_for_warp_size_vIXT2_EEEvE4typeEPT_PT0_S4_: ; @_Z33tail_segmented_warp_reduce_kernelIfhLj60ELj15EENSt9enable_ifIXsr10test_utilsE35device_test_enabled_for_warp_size_vIXT2_EEEvE4typeEPT_PT0_S4_
; %bb.0:
	s_load_dword s7, s[4:5], 0x24
	s_load_dwordx4 s[0:3], s[4:5], 0x0
	v_mov_b32_e32 v5, 0
	s_waitcnt lgkmcnt(0)
	s_and_b32 s7, s7, 0xffff
	s_mul_i32 s6, s6, s7
	v_add_u32_e32 v4, s6, v0
	global_load_ubyte v8, v4, s[2:3]
	v_lshlrev_b64 v[2:3], 2, v[4:5]
	v_mov_b32_e32 v1, s1
	v_add_co_u32_e32 v4, vcc, s0, v2
	v_addc_co_u32_e32 v5, vcc, v1, v3, vcc
	global_load_dword v1, v[4:5], off
	v_mbcnt_lo_u32_b32 v4, -1, 0
	s_mov_b32 s0, 0x11111112
	v_mul_u32_u24_e32 v0, 0x1112, v0
	v_mbcnt_hi_u32_b32 v4, -1, v4
	v_lshrrev_b32_e32 v5, 16, v0
	v_mul_hi_u32 v0, v4, s0
	v_lshlrev_b64 v[6:7], v4, -1
	v_mul_u32_u24_e32 v9, 15, v0
	v_sub_u32_e32 v0, v4, v9
	v_lshlrev_b32_e32 v4, 2, v0
	v_mad_u32_u24 v4, v5, 60, v4
	s_waitcnt vmcnt(1)
	v_cmp_ne_u16_e32 vcc, 0, v8
	v_and_b32_e32 v7, vcc_hi, v7
	v_and_b32_e32 v6, vcc_lo, v6
	v_lshrrev_b64 v[6:7], v9, v[6:7]
	v_or_b32_e32 v5, 0x4000, v6
	v_ffbl_b32_e32 v6, v7
	v_add_u32_e32 v6, 32, v6
	v_ffbl_b32_e32 v5, v5
	v_min_u32_e32 v5, v5, v6
	v_cmp_lt_u32_e32 vcc, v0, v5
	s_waitcnt vmcnt(0)
	ds_write_b32 v4, v1
	; wave barrier
	s_and_saveexec_b64 s[0:1], vcc
	s_cbranch_execz .LBB197_2
; %bb.1:
	ds_read_b32 v6, v4 offset:4
	s_waitcnt lgkmcnt(0)
	v_add_f32_e32 v1, v1, v6
.LBB197_2:
	s_or_b64 exec, exec, s[0:1]
	s_load_dwordx2 s[0:1], s[4:5], 0x10
	v_add_u32_e32 v6, 2, v0
	v_cmp_le_u32_e32 vcc, v6, v5
	; wave barrier
	ds_write_b32 v4, v1
	; wave barrier
	s_and_saveexec_b64 s[2:3], vcc
	s_cbranch_execz .LBB197_4
; %bb.3:
	ds_read_b32 v6, v4 offset:8
	s_waitcnt lgkmcnt(0)
	v_add_f32_e32 v1, v1, v6
.LBB197_4:
	s_or_b64 exec, exec, s[2:3]
	v_add_u32_e32 v6, 4, v0
	v_cmp_le_u32_e32 vcc, v6, v5
	; wave barrier
	ds_write_b32 v4, v1
	; wave barrier
	s_and_saveexec_b64 s[2:3], vcc
	s_cbranch_execz .LBB197_6
; %bb.5:
	ds_read_b32 v6, v4 offset:16
	s_waitcnt lgkmcnt(0)
	v_add_f32_e32 v1, v1, v6
.LBB197_6:
	s_or_b64 exec, exec, s[2:3]
	;; [unrolled: 13-line block ×3, first 2 shown]
	s_waitcnt lgkmcnt(0)
	v_mov_b32_e32 v0, s1
	v_add_co_u32_e32 v2, vcc, s0, v2
	v_addc_co_u32_e32 v3, vcc, v0, v3, vcc
	; wave barrier
	global_store_dword v[2:3], v1, off
	s_endpgm
	.section	.rodata,"a",@progbits
	.p2align	6, 0x0
	.amdhsa_kernel _Z33tail_segmented_warp_reduce_kernelIfhLj60ELj15EENSt9enable_ifIXsr10test_utilsE35device_test_enabled_for_warp_size_vIXT2_EEEvE4typeEPT_PT0_S4_
		.amdhsa_group_segment_fixed_size 240
		.amdhsa_private_segment_fixed_size 0
		.amdhsa_kernarg_size 280
		.amdhsa_user_sgpr_count 6
		.amdhsa_user_sgpr_private_segment_buffer 1
		.amdhsa_user_sgpr_dispatch_ptr 0
		.amdhsa_user_sgpr_queue_ptr 0
		.amdhsa_user_sgpr_kernarg_segment_ptr 1
		.amdhsa_user_sgpr_dispatch_id 0
		.amdhsa_user_sgpr_flat_scratch_init 0
		.amdhsa_user_sgpr_kernarg_preload_length 0
		.amdhsa_user_sgpr_kernarg_preload_offset 0
		.amdhsa_user_sgpr_private_segment_size 0
		.amdhsa_uses_dynamic_stack 0
		.amdhsa_system_sgpr_private_segment_wavefront_offset 0
		.amdhsa_system_sgpr_workgroup_id_x 1
		.amdhsa_system_sgpr_workgroup_id_y 0
		.amdhsa_system_sgpr_workgroup_id_z 0
		.amdhsa_system_sgpr_workgroup_info 0
		.amdhsa_system_vgpr_workitem_id 0
		.amdhsa_next_free_vgpr 10
		.amdhsa_next_free_sgpr 8
		.amdhsa_accum_offset 12
		.amdhsa_reserve_vcc 1
		.amdhsa_reserve_flat_scratch 0
		.amdhsa_float_round_mode_32 0
		.amdhsa_float_round_mode_16_64 0
		.amdhsa_float_denorm_mode_32 3
		.amdhsa_float_denorm_mode_16_64 3
		.amdhsa_dx10_clamp 1
		.amdhsa_ieee_mode 1
		.amdhsa_fp16_overflow 0
		.amdhsa_tg_split 0
		.amdhsa_exception_fp_ieee_invalid_op 0
		.amdhsa_exception_fp_denorm_src 0
		.amdhsa_exception_fp_ieee_div_zero 0
		.amdhsa_exception_fp_ieee_overflow 0
		.amdhsa_exception_fp_ieee_underflow 0
		.amdhsa_exception_fp_ieee_inexact 0
		.amdhsa_exception_int_div_zero 0
	.end_amdhsa_kernel
	.section	.text._Z33tail_segmented_warp_reduce_kernelIfhLj60ELj15EENSt9enable_ifIXsr10test_utilsE35device_test_enabled_for_warp_size_vIXT2_EEEvE4typeEPT_PT0_S4_,"axG",@progbits,_Z33tail_segmented_warp_reduce_kernelIfhLj60ELj15EENSt9enable_ifIXsr10test_utilsE35device_test_enabled_for_warp_size_vIXT2_EEEvE4typeEPT_PT0_S4_,comdat
.Lfunc_end197:
	.size	_Z33tail_segmented_warp_reduce_kernelIfhLj60ELj15EENSt9enable_ifIXsr10test_utilsE35device_test_enabled_for_warp_size_vIXT2_EEEvE4typeEPT_PT0_S4_, .Lfunc_end197-_Z33tail_segmented_warp_reduce_kernelIfhLj60ELj15EENSt9enable_ifIXsr10test_utilsE35device_test_enabled_for_warp_size_vIXT2_EEEvE4typeEPT_PT0_S4_
                                        ; -- End function
	.section	.AMDGPU.csdata,"",@progbits
; Kernel info:
; codeLenInByte = 408
; NumSgprs: 12
; NumVgprs: 10
; NumAgprs: 0
; TotalNumVgprs: 10
; ScratchSize: 0
; MemoryBound: 0
; FloatMode: 240
; IeeeMode: 1
; LDSByteSize: 240 bytes/workgroup (compile time only)
; SGPRBlocks: 1
; VGPRBlocks: 1
; NumSGPRsForWavesPerEU: 12
; NumVGPRsForWavesPerEU: 10
; AccumOffset: 12
; Occupancy: 8
; WaveLimiterHint : 0
; COMPUTE_PGM_RSRC2:SCRATCH_EN: 0
; COMPUTE_PGM_RSRC2:USER_SGPR: 6
; COMPUTE_PGM_RSRC2:TRAP_HANDLER: 0
; COMPUTE_PGM_RSRC2:TGID_X_EN: 1
; COMPUTE_PGM_RSRC2:TGID_Y_EN: 0
; COMPUTE_PGM_RSRC2:TGID_Z_EN: 0
; COMPUTE_PGM_RSRC2:TIDIG_COMP_CNT: 0
; COMPUTE_PGM_RSRC3_GFX90A:ACCUM_OFFSET: 2
; COMPUTE_PGM_RSRC3_GFX90A:TG_SPLIT: 0
	.section	.text._Z33tail_segmented_warp_reduce_kernelIfhLj28ELj7EENSt9enable_ifIXsr10test_utilsE35device_test_enabled_for_warp_size_vIXT2_EEEvE4typeEPT_PT0_S4_,"axG",@progbits,_Z33tail_segmented_warp_reduce_kernelIfhLj28ELj7EENSt9enable_ifIXsr10test_utilsE35device_test_enabled_for_warp_size_vIXT2_EEEvE4typeEPT_PT0_S4_,comdat
	.protected	_Z33tail_segmented_warp_reduce_kernelIfhLj28ELj7EENSt9enable_ifIXsr10test_utilsE35device_test_enabled_for_warp_size_vIXT2_EEEvE4typeEPT_PT0_S4_ ; -- Begin function _Z33tail_segmented_warp_reduce_kernelIfhLj28ELj7EENSt9enable_ifIXsr10test_utilsE35device_test_enabled_for_warp_size_vIXT2_EEEvE4typeEPT_PT0_S4_
	.globl	_Z33tail_segmented_warp_reduce_kernelIfhLj28ELj7EENSt9enable_ifIXsr10test_utilsE35device_test_enabled_for_warp_size_vIXT2_EEEvE4typeEPT_PT0_S4_
	.p2align	8
	.type	_Z33tail_segmented_warp_reduce_kernelIfhLj28ELj7EENSt9enable_ifIXsr10test_utilsE35device_test_enabled_for_warp_size_vIXT2_EEEvE4typeEPT_PT0_S4_,@function
_Z33tail_segmented_warp_reduce_kernelIfhLj28ELj7EENSt9enable_ifIXsr10test_utilsE35device_test_enabled_for_warp_size_vIXT2_EEEvE4typeEPT_PT0_S4_: ; @_Z33tail_segmented_warp_reduce_kernelIfhLj28ELj7EENSt9enable_ifIXsr10test_utilsE35device_test_enabled_for_warp_size_vIXT2_EEEvE4typeEPT_PT0_S4_
; %bb.0:
	s_load_dword s2, s[4:5], 0x24
	s_load_dwordx4 s[8:11], s[4:5], 0x0
	s_load_dwordx2 s[0:1], s[4:5], 0x10
	v_mov_b32_e32 v5, 0
	s_waitcnt lgkmcnt(0)
	s_and_b32 s2, s2, 0xffff
	s_mul_i32 s6, s6, s2
	v_add_u32_e32 v4, s6, v0
	global_load_ubyte v8, v4, s[10:11]
	v_lshlrev_b64 v[2:3], 2, v[4:5]
	v_mov_b32_e32 v1, s9
	v_add_co_u32_e32 v4, vcc, s8, v2
	v_addc_co_u32_e32 v5, vcc, v1, v3, vcc
	global_load_dword v1, v[4:5], off
	v_mbcnt_lo_u32_b32 v4, -1, 0
	s_mov_b32 s2, 0x24924925
	v_mul_u32_u24_e32 v0, 0x2493, v0
	v_mbcnt_hi_u32_b32 v4, -1, v4
	v_lshrrev_b32_e32 v5, 16, v0
	v_mul_hi_u32 v0, v4, s2
	v_lshlrev_b64 v[6:7], v4, -1
	v_mul_u32_u24_e32 v9, 7, v0
	v_sub_u32_e32 v0, v4, v9
	v_lshlrev_b32_e32 v4, 2, v0
	v_mad_u32_u24 v4, v5, 28, v4
	s_waitcnt vmcnt(1)
	v_cmp_ne_u16_e32 vcc, 0, v8
	v_and_b32_e32 v7, vcc_hi, v7
	v_and_b32_e32 v6, vcc_lo, v6
	v_lshrrev_b64 v[6:7], v9, v[6:7]
	v_or_b32_e32 v5, 64, v6
	v_ffbl_b32_e32 v6, v7
	v_add_u32_e32 v6, 32, v6
	v_ffbl_b32_e32 v5, v5
	v_min_u32_e32 v5, v5, v6
	v_cmp_lt_u32_e32 vcc, v0, v5
	s_waitcnt vmcnt(0)
	ds_write_b32 v4, v1
	; wave barrier
	s_and_saveexec_b64 s[2:3], vcc
	s_cbranch_execz .LBB198_2
; %bb.1:
	ds_read_b32 v6, v4 offset:4
	s_waitcnt lgkmcnt(0)
	v_add_f32_e32 v1, v1, v6
.LBB198_2:
	s_or_b64 exec, exec, s[2:3]
	v_add_u32_e32 v6, 2, v0
	v_cmp_le_u32_e32 vcc, v6, v5
	; wave barrier
	ds_write_b32 v4, v1
	; wave barrier
	s_and_saveexec_b64 s[2:3], vcc
	s_cbranch_execz .LBB198_4
; %bb.3:
	ds_read_b32 v6, v4 offset:8
	s_waitcnt lgkmcnt(0)
	v_add_f32_e32 v1, v1, v6
.LBB198_4:
	s_or_b64 exec, exec, s[2:3]
	v_add_u32_e32 v0, 4, v0
	v_cmp_le_u32_e32 vcc, v0, v5
	; wave barrier
	ds_write_b32 v4, v1
	; wave barrier
	s_and_saveexec_b64 s[2:3], vcc
	s_cbranch_execz .LBB198_6
; %bb.5:
	ds_read_b32 v0, v4 offset:16
	s_waitcnt lgkmcnt(0)
	v_add_f32_e32 v1, v1, v0
.LBB198_6:
	s_or_b64 exec, exec, s[2:3]
	v_mov_b32_e32 v0, s1
	v_add_co_u32_e32 v2, vcc, s0, v2
	v_addc_co_u32_e32 v3, vcc, v0, v3, vcc
	; wave barrier
	global_store_dword v[2:3], v1, off
	s_endpgm
	.section	.rodata,"a",@progbits
	.p2align	6, 0x0
	.amdhsa_kernel _Z33tail_segmented_warp_reduce_kernelIfhLj28ELj7EENSt9enable_ifIXsr10test_utilsE35device_test_enabled_for_warp_size_vIXT2_EEEvE4typeEPT_PT0_S4_
		.amdhsa_group_segment_fixed_size 112
		.amdhsa_private_segment_fixed_size 0
		.amdhsa_kernarg_size 280
		.amdhsa_user_sgpr_count 6
		.amdhsa_user_sgpr_private_segment_buffer 1
		.amdhsa_user_sgpr_dispatch_ptr 0
		.amdhsa_user_sgpr_queue_ptr 0
		.amdhsa_user_sgpr_kernarg_segment_ptr 1
		.amdhsa_user_sgpr_dispatch_id 0
		.amdhsa_user_sgpr_flat_scratch_init 0
		.amdhsa_user_sgpr_kernarg_preload_length 0
		.amdhsa_user_sgpr_kernarg_preload_offset 0
		.amdhsa_user_sgpr_private_segment_size 0
		.amdhsa_uses_dynamic_stack 0
		.amdhsa_system_sgpr_private_segment_wavefront_offset 0
		.amdhsa_system_sgpr_workgroup_id_x 1
		.amdhsa_system_sgpr_workgroup_id_y 0
		.amdhsa_system_sgpr_workgroup_id_z 0
		.amdhsa_system_sgpr_workgroup_info 0
		.amdhsa_system_vgpr_workitem_id 0
		.amdhsa_next_free_vgpr 10
		.amdhsa_next_free_sgpr 12
		.amdhsa_accum_offset 12
		.amdhsa_reserve_vcc 1
		.amdhsa_reserve_flat_scratch 0
		.amdhsa_float_round_mode_32 0
		.amdhsa_float_round_mode_16_64 0
		.amdhsa_float_denorm_mode_32 3
		.amdhsa_float_denorm_mode_16_64 3
		.amdhsa_dx10_clamp 1
		.amdhsa_ieee_mode 1
		.amdhsa_fp16_overflow 0
		.amdhsa_tg_split 0
		.amdhsa_exception_fp_ieee_invalid_op 0
		.amdhsa_exception_fp_denorm_src 0
		.amdhsa_exception_fp_ieee_div_zero 0
		.amdhsa_exception_fp_ieee_overflow 0
		.amdhsa_exception_fp_ieee_underflow 0
		.amdhsa_exception_fp_ieee_inexact 0
		.amdhsa_exception_int_div_zero 0
	.end_amdhsa_kernel
	.section	.text._Z33tail_segmented_warp_reduce_kernelIfhLj28ELj7EENSt9enable_ifIXsr10test_utilsE35device_test_enabled_for_warp_size_vIXT2_EEEvE4typeEPT_PT0_S4_,"axG",@progbits,_Z33tail_segmented_warp_reduce_kernelIfhLj28ELj7EENSt9enable_ifIXsr10test_utilsE35device_test_enabled_for_warp_size_vIXT2_EEEvE4typeEPT_PT0_S4_,comdat
.Lfunc_end198:
	.size	_Z33tail_segmented_warp_reduce_kernelIfhLj28ELj7EENSt9enable_ifIXsr10test_utilsE35device_test_enabled_for_warp_size_vIXT2_EEEvE4typeEPT_PT0_S4_, .Lfunc_end198-_Z33tail_segmented_warp_reduce_kernelIfhLj28ELj7EENSt9enable_ifIXsr10test_utilsE35device_test_enabled_for_warp_size_vIXT2_EEEvE4typeEPT_PT0_S4_
                                        ; -- End function
	.section	.AMDGPU.csdata,"",@progbits
; Kernel info:
; codeLenInByte = 356
; NumSgprs: 16
; NumVgprs: 10
; NumAgprs: 0
; TotalNumVgprs: 10
; ScratchSize: 0
; MemoryBound: 0
; FloatMode: 240
; IeeeMode: 1
; LDSByteSize: 112 bytes/workgroup (compile time only)
; SGPRBlocks: 1
; VGPRBlocks: 1
; NumSGPRsForWavesPerEU: 16
; NumVGPRsForWavesPerEU: 10
; AccumOffset: 12
; Occupancy: 8
; WaveLimiterHint : 0
; COMPUTE_PGM_RSRC2:SCRATCH_EN: 0
; COMPUTE_PGM_RSRC2:USER_SGPR: 6
; COMPUTE_PGM_RSRC2:TRAP_HANDLER: 0
; COMPUTE_PGM_RSRC2:TGID_X_EN: 1
; COMPUTE_PGM_RSRC2:TGID_Y_EN: 0
; COMPUTE_PGM_RSRC2:TGID_Z_EN: 0
; COMPUTE_PGM_RSRC2:TIDIG_COMP_CNT: 0
; COMPUTE_PGM_RSRC3_GFX90A:ACCUM_OFFSET: 2
; COMPUTE_PGM_RSRC3_GFX90A:TG_SPLIT: 0
	.section	.text._Z33tail_segmented_warp_reduce_kernelIfhLj63ELj7EENSt9enable_ifIXsr10test_utilsE35device_test_enabled_for_warp_size_vIXT2_EEEvE4typeEPT_PT0_S4_,"axG",@progbits,_Z33tail_segmented_warp_reduce_kernelIfhLj63ELj7EENSt9enable_ifIXsr10test_utilsE35device_test_enabled_for_warp_size_vIXT2_EEEvE4typeEPT_PT0_S4_,comdat
	.protected	_Z33tail_segmented_warp_reduce_kernelIfhLj63ELj7EENSt9enable_ifIXsr10test_utilsE35device_test_enabled_for_warp_size_vIXT2_EEEvE4typeEPT_PT0_S4_ ; -- Begin function _Z33tail_segmented_warp_reduce_kernelIfhLj63ELj7EENSt9enable_ifIXsr10test_utilsE35device_test_enabled_for_warp_size_vIXT2_EEEvE4typeEPT_PT0_S4_
	.globl	_Z33tail_segmented_warp_reduce_kernelIfhLj63ELj7EENSt9enable_ifIXsr10test_utilsE35device_test_enabled_for_warp_size_vIXT2_EEEvE4typeEPT_PT0_S4_
	.p2align	8
	.type	_Z33tail_segmented_warp_reduce_kernelIfhLj63ELj7EENSt9enable_ifIXsr10test_utilsE35device_test_enabled_for_warp_size_vIXT2_EEEvE4typeEPT_PT0_S4_,@function
_Z33tail_segmented_warp_reduce_kernelIfhLj63ELj7EENSt9enable_ifIXsr10test_utilsE35device_test_enabled_for_warp_size_vIXT2_EEEvE4typeEPT_PT0_S4_: ; @_Z33tail_segmented_warp_reduce_kernelIfhLj63ELj7EENSt9enable_ifIXsr10test_utilsE35device_test_enabled_for_warp_size_vIXT2_EEEvE4typeEPT_PT0_S4_
; %bb.0:
	s_load_dword s2, s[4:5], 0x24
	s_load_dwordx4 s[8:11], s[4:5], 0x0
	s_load_dwordx2 s[0:1], s[4:5], 0x10
	v_mov_b32_e32 v5, 0
	s_waitcnt lgkmcnt(0)
	s_and_b32 s2, s2, 0xffff
	s_mul_i32 s6, s6, s2
	v_add_u32_e32 v4, s6, v0
	global_load_ubyte v8, v4, s[10:11]
	v_lshlrev_b64 v[2:3], 2, v[4:5]
	v_mov_b32_e32 v1, s9
	v_add_co_u32_e32 v4, vcc, s8, v2
	v_addc_co_u32_e32 v5, vcc, v1, v3, vcc
	global_load_dword v1, v[4:5], off
	v_mbcnt_lo_u32_b32 v4, -1, 0
	s_mov_b32 s2, 0x24924925
	v_mul_u32_u24_e32 v0, 0x2493, v0
	v_mbcnt_hi_u32_b32 v4, -1, v4
	v_lshrrev_b32_e32 v5, 16, v0
	v_mul_hi_u32 v0, v4, s2
	v_lshlrev_b64 v[6:7], v4, -1
	v_mul_u32_u24_e32 v9, 7, v0
	v_sub_u32_e32 v0, v4, v9
	v_lshlrev_b32_e32 v4, 2, v0
	v_mad_u32_u24 v4, v5, 28, v4
	s_waitcnt vmcnt(1)
	v_cmp_ne_u16_e32 vcc, 0, v8
	v_and_b32_e32 v7, vcc_hi, v7
	v_and_b32_e32 v6, vcc_lo, v6
	v_lshrrev_b64 v[6:7], v9, v[6:7]
	v_or_b32_e32 v5, 64, v6
	v_ffbl_b32_e32 v6, v7
	v_add_u32_e32 v6, 32, v6
	v_ffbl_b32_e32 v5, v5
	v_min_u32_e32 v5, v5, v6
	v_cmp_lt_u32_e32 vcc, v0, v5
	s_waitcnt vmcnt(0)
	ds_write_b32 v4, v1
	; wave barrier
	s_and_saveexec_b64 s[2:3], vcc
	s_cbranch_execz .LBB199_2
; %bb.1:
	ds_read_b32 v6, v4 offset:4
	s_waitcnt lgkmcnt(0)
	v_add_f32_e32 v1, v1, v6
.LBB199_2:
	s_or_b64 exec, exec, s[2:3]
	v_add_u32_e32 v6, 2, v0
	v_cmp_le_u32_e32 vcc, v6, v5
	; wave barrier
	ds_write_b32 v4, v1
	; wave barrier
	s_and_saveexec_b64 s[2:3], vcc
	s_cbranch_execz .LBB199_4
; %bb.3:
	ds_read_b32 v6, v4 offset:8
	s_waitcnt lgkmcnt(0)
	v_add_f32_e32 v1, v1, v6
.LBB199_4:
	s_or_b64 exec, exec, s[2:3]
	v_add_u32_e32 v0, 4, v0
	v_cmp_le_u32_e32 vcc, v0, v5
	; wave barrier
	ds_write_b32 v4, v1
	; wave barrier
	s_and_saveexec_b64 s[2:3], vcc
	s_cbranch_execz .LBB199_6
; %bb.5:
	ds_read_b32 v0, v4 offset:16
	s_waitcnt lgkmcnt(0)
	v_add_f32_e32 v1, v1, v0
.LBB199_6:
	s_or_b64 exec, exec, s[2:3]
	v_mov_b32_e32 v0, s1
	v_add_co_u32_e32 v2, vcc, s0, v2
	v_addc_co_u32_e32 v3, vcc, v0, v3, vcc
	; wave barrier
	global_store_dword v[2:3], v1, off
	s_endpgm
	.section	.rodata,"a",@progbits
	.p2align	6, 0x0
	.amdhsa_kernel _Z33tail_segmented_warp_reduce_kernelIfhLj63ELj7EENSt9enable_ifIXsr10test_utilsE35device_test_enabled_for_warp_size_vIXT2_EEEvE4typeEPT_PT0_S4_
		.amdhsa_group_segment_fixed_size 252
		.amdhsa_private_segment_fixed_size 0
		.amdhsa_kernarg_size 280
		.amdhsa_user_sgpr_count 6
		.amdhsa_user_sgpr_private_segment_buffer 1
		.amdhsa_user_sgpr_dispatch_ptr 0
		.amdhsa_user_sgpr_queue_ptr 0
		.amdhsa_user_sgpr_kernarg_segment_ptr 1
		.amdhsa_user_sgpr_dispatch_id 0
		.amdhsa_user_sgpr_flat_scratch_init 0
		.amdhsa_user_sgpr_kernarg_preload_length 0
		.amdhsa_user_sgpr_kernarg_preload_offset 0
		.amdhsa_user_sgpr_private_segment_size 0
		.amdhsa_uses_dynamic_stack 0
		.amdhsa_system_sgpr_private_segment_wavefront_offset 0
		.amdhsa_system_sgpr_workgroup_id_x 1
		.amdhsa_system_sgpr_workgroup_id_y 0
		.amdhsa_system_sgpr_workgroup_id_z 0
		.amdhsa_system_sgpr_workgroup_info 0
		.amdhsa_system_vgpr_workitem_id 0
		.amdhsa_next_free_vgpr 10
		.amdhsa_next_free_sgpr 12
		.amdhsa_accum_offset 12
		.amdhsa_reserve_vcc 1
		.amdhsa_reserve_flat_scratch 0
		.amdhsa_float_round_mode_32 0
		.amdhsa_float_round_mode_16_64 0
		.amdhsa_float_denorm_mode_32 3
		.amdhsa_float_denorm_mode_16_64 3
		.amdhsa_dx10_clamp 1
		.amdhsa_ieee_mode 1
		.amdhsa_fp16_overflow 0
		.amdhsa_tg_split 0
		.amdhsa_exception_fp_ieee_invalid_op 0
		.amdhsa_exception_fp_denorm_src 0
		.amdhsa_exception_fp_ieee_div_zero 0
		.amdhsa_exception_fp_ieee_overflow 0
		.amdhsa_exception_fp_ieee_underflow 0
		.amdhsa_exception_fp_ieee_inexact 0
		.amdhsa_exception_int_div_zero 0
	.end_amdhsa_kernel
	.section	.text._Z33tail_segmented_warp_reduce_kernelIfhLj63ELj7EENSt9enable_ifIXsr10test_utilsE35device_test_enabled_for_warp_size_vIXT2_EEEvE4typeEPT_PT0_S4_,"axG",@progbits,_Z33tail_segmented_warp_reduce_kernelIfhLj63ELj7EENSt9enable_ifIXsr10test_utilsE35device_test_enabled_for_warp_size_vIXT2_EEEvE4typeEPT_PT0_S4_,comdat
.Lfunc_end199:
	.size	_Z33tail_segmented_warp_reduce_kernelIfhLj63ELj7EENSt9enable_ifIXsr10test_utilsE35device_test_enabled_for_warp_size_vIXT2_EEEvE4typeEPT_PT0_S4_, .Lfunc_end199-_Z33tail_segmented_warp_reduce_kernelIfhLj63ELj7EENSt9enable_ifIXsr10test_utilsE35device_test_enabled_for_warp_size_vIXT2_EEEvE4typeEPT_PT0_S4_
                                        ; -- End function
	.section	.AMDGPU.csdata,"",@progbits
; Kernel info:
; codeLenInByte = 356
; NumSgprs: 16
; NumVgprs: 10
; NumAgprs: 0
; TotalNumVgprs: 10
; ScratchSize: 0
; MemoryBound: 0
; FloatMode: 240
; IeeeMode: 1
; LDSByteSize: 252 bytes/workgroup (compile time only)
; SGPRBlocks: 1
; VGPRBlocks: 1
; NumSGPRsForWavesPerEU: 16
; NumVGPRsForWavesPerEU: 10
; AccumOffset: 12
; Occupancy: 8
; WaveLimiterHint : 0
; COMPUTE_PGM_RSRC2:SCRATCH_EN: 0
; COMPUTE_PGM_RSRC2:USER_SGPR: 6
; COMPUTE_PGM_RSRC2:TRAP_HANDLER: 0
; COMPUTE_PGM_RSRC2:TGID_X_EN: 1
; COMPUTE_PGM_RSRC2:TGID_Y_EN: 0
; COMPUTE_PGM_RSRC2:TGID_Z_EN: 0
; COMPUTE_PGM_RSRC2:TIDIG_COMP_CNT: 0
; COMPUTE_PGM_RSRC3_GFX90A:ACCUM_OFFSET: 2
; COMPUTE_PGM_RSRC3_GFX90A:TG_SPLIT: 0
	.section	.text._Z33tail_segmented_warp_reduce_kernelIfhLj30ELj3EENSt9enable_ifIXsr10test_utilsE35device_test_enabled_for_warp_size_vIXT2_EEEvE4typeEPT_PT0_S4_,"axG",@progbits,_Z33tail_segmented_warp_reduce_kernelIfhLj30ELj3EENSt9enable_ifIXsr10test_utilsE35device_test_enabled_for_warp_size_vIXT2_EEEvE4typeEPT_PT0_S4_,comdat
	.protected	_Z33tail_segmented_warp_reduce_kernelIfhLj30ELj3EENSt9enable_ifIXsr10test_utilsE35device_test_enabled_for_warp_size_vIXT2_EEEvE4typeEPT_PT0_S4_ ; -- Begin function _Z33tail_segmented_warp_reduce_kernelIfhLj30ELj3EENSt9enable_ifIXsr10test_utilsE35device_test_enabled_for_warp_size_vIXT2_EEEvE4typeEPT_PT0_S4_
	.globl	_Z33tail_segmented_warp_reduce_kernelIfhLj30ELj3EENSt9enable_ifIXsr10test_utilsE35device_test_enabled_for_warp_size_vIXT2_EEEvE4typeEPT_PT0_S4_
	.p2align	8
	.type	_Z33tail_segmented_warp_reduce_kernelIfhLj30ELj3EENSt9enable_ifIXsr10test_utilsE35device_test_enabled_for_warp_size_vIXT2_EEEvE4typeEPT_PT0_S4_,@function
_Z33tail_segmented_warp_reduce_kernelIfhLj30ELj3EENSt9enable_ifIXsr10test_utilsE35device_test_enabled_for_warp_size_vIXT2_EEEvE4typeEPT_PT0_S4_: ; @_Z33tail_segmented_warp_reduce_kernelIfhLj30ELj3EENSt9enable_ifIXsr10test_utilsE35device_test_enabled_for_warp_size_vIXT2_EEEvE4typeEPT_PT0_S4_
; %bb.0:
	s_load_dword s2, s[4:5], 0x24
	s_load_dwordx4 s[8:11], s[4:5], 0x0
	s_load_dwordx2 s[0:1], s[4:5], 0x10
	v_mov_b32_e32 v5, 0
	s_waitcnt lgkmcnt(0)
	s_and_b32 s2, s2, 0xffff
	s_mul_i32 s6, s6, s2
	v_add_u32_e32 v4, s6, v0
	global_load_ubyte v8, v4, s[10:11]
	v_lshlrev_b64 v[2:3], 2, v[4:5]
	v_mov_b32_e32 v1, s9
	v_add_co_u32_e32 v4, vcc, s8, v2
	v_addc_co_u32_e32 v5, vcc, v1, v3, vcc
	global_load_dword v1, v[4:5], off
	v_mbcnt_lo_u32_b32 v4, -1, 0
	s_mov_b32 s2, 0x55555556
	v_mul_u32_u24_e32 v0, 0x5556, v0
	v_mbcnt_hi_u32_b32 v4, -1, v4
	v_lshrrev_b32_e32 v5, 16, v0
	v_mul_hi_u32 v0, v4, s2
	v_lshlrev_b64 v[6:7], v4, -1
	v_mul_u32_u24_e32 v9, 3, v0
	v_sub_u32_e32 v0, v4, v9
	v_lshlrev_b32_e32 v4, 2, v0
	v_mad_u32_u24 v4, v5, 12, v4
	s_waitcnt vmcnt(1)
	v_cmp_ne_u16_e32 vcc, 0, v8
	v_and_b32_e32 v7, vcc_hi, v7
	v_and_b32_e32 v6, vcc_lo, v6
	v_lshrrev_b64 v[6:7], v9, v[6:7]
	v_or_b32_e32 v5, 4, v6
	v_ffbl_b32_e32 v6, v7
	v_add_u32_e32 v6, 32, v6
	v_ffbl_b32_e32 v5, v5
	v_min_u32_e32 v5, v5, v6
	v_cmp_lt_u32_e32 vcc, v0, v5
	s_waitcnt vmcnt(0)
	ds_write_b32 v4, v1
	; wave barrier
	s_and_saveexec_b64 s[2:3], vcc
	s_cbranch_execz .LBB200_2
; %bb.1:
	ds_read_b32 v6, v4 offset:4
	s_waitcnt lgkmcnt(0)
	v_add_f32_e32 v1, v1, v6
.LBB200_2:
	s_or_b64 exec, exec, s[2:3]
	v_add_u32_e32 v0, 2, v0
	v_cmp_le_u32_e32 vcc, v0, v5
	; wave barrier
	ds_write_b32 v4, v1
	; wave barrier
	s_and_saveexec_b64 s[2:3], vcc
	s_cbranch_execz .LBB200_4
; %bb.3:
	ds_read_b32 v0, v4 offset:8
	s_waitcnt lgkmcnt(0)
	v_add_f32_e32 v1, v1, v0
.LBB200_4:
	s_or_b64 exec, exec, s[2:3]
	v_mov_b32_e32 v0, s1
	v_add_co_u32_e32 v2, vcc, s0, v2
	v_addc_co_u32_e32 v3, vcc, v0, v3, vcc
	; wave barrier
	global_store_dword v[2:3], v1, off
	s_endpgm
	.section	.rodata,"a",@progbits
	.p2align	6, 0x0
	.amdhsa_kernel _Z33tail_segmented_warp_reduce_kernelIfhLj30ELj3EENSt9enable_ifIXsr10test_utilsE35device_test_enabled_for_warp_size_vIXT2_EEEvE4typeEPT_PT0_S4_
		.amdhsa_group_segment_fixed_size 120
		.amdhsa_private_segment_fixed_size 0
		.amdhsa_kernarg_size 280
		.amdhsa_user_sgpr_count 6
		.amdhsa_user_sgpr_private_segment_buffer 1
		.amdhsa_user_sgpr_dispatch_ptr 0
		.amdhsa_user_sgpr_queue_ptr 0
		.amdhsa_user_sgpr_kernarg_segment_ptr 1
		.amdhsa_user_sgpr_dispatch_id 0
		.amdhsa_user_sgpr_flat_scratch_init 0
		.amdhsa_user_sgpr_kernarg_preload_length 0
		.amdhsa_user_sgpr_kernarg_preload_offset 0
		.amdhsa_user_sgpr_private_segment_size 0
		.amdhsa_uses_dynamic_stack 0
		.amdhsa_system_sgpr_private_segment_wavefront_offset 0
		.amdhsa_system_sgpr_workgroup_id_x 1
		.amdhsa_system_sgpr_workgroup_id_y 0
		.amdhsa_system_sgpr_workgroup_id_z 0
		.amdhsa_system_sgpr_workgroup_info 0
		.amdhsa_system_vgpr_workitem_id 0
		.amdhsa_next_free_vgpr 10
		.amdhsa_next_free_sgpr 12
		.amdhsa_accum_offset 12
		.amdhsa_reserve_vcc 1
		.amdhsa_reserve_flat_scratch 0
		.amdhsa_float_round_mode_32 0
		.amdhsa_float_round_mode_16_64 0
		.amdhsa_float_denorm_mode_32 3
		.amdhsa_float_denorm_mode_16_64 3
		.amdhsa_dx10_clamp 1
		.amdhsa_ieee_mode 1
		.amdhsa_fp16_overflow 0
		.amdhsa_tg_split 0
		.amdhsa_exception_fp_ieee_invalid_op 0
		.amdhsa_exception_fp_denorm_src 0
		.amdhsa_exception_fp_ieee_div_zero 0
		.amdhsa_exception_fp_ieee_overflow 0
		.amdhsa_exception_fp_ieee_underflow 0
		.amdhsa_exception_fp_ieee_inexact 0
		.amdhsa_exception_int_div_zero 0
	.end_amdhsa_kernel
	.section	.text._Z33tail_segmented_warp_reduce_kernelIfhLj30ELj3EENSt9enable_ifIXsr10test_utilsE35device_test_enabled_for_warp_size_vIXT2_EEEvE4typeEPT_PT0_S4_,"axG",@progbits,_Z33tail_segmented_warp_reduce_kernelIfhLj30ELj3EENSt9enable_ifIXsr10test_utilsE35device_test_enabled_for_warp_size_vIXT2_EEEvE4typeEPT_PT0_S4_,comdat
.Lfunc_end200:
	.size	_Z33tail_segmented_warp_reduce_kernelIfhLj30ELj3EENSt9enable_ifIXsr10test_utilsE35device_test_enabled_for_warp_size_vIXT2_EEEvE4typeEPT_PT0_S4_, .Lfunc_end200-_Z33tail_segmented_warp_reduce_kernelIfhLj30ELj3EENSt9enable_ifIXsr10test_utilsE35device_test_enabled_for_warp_size_vIXT2_EEEvE4typeEPT_PT0_S4_
                                        ; -- End function
	.section	.AMDGPU.csdata,"",@progbits
; Kernel info:
; codeLenInByte = 312
; NumSgprs: 16
; NumVgprs: 10
; NumAgprs: 0
; TotalNumVgprs: 10
; ScratchSize: 0
; MemoryBound: 0
; FloatMode: 240
; IeeeMode: 1
; LDSByteSize: 120 bytes/workgroup (compile time only)
; SGPRBlocks: 1
; VGPRBlocks: 1
; NumSGPRsForWavesPerEU: 16
; NumVGPRsForWavesPerEU: 10
; AccumOffset: 12
; Occupancy: 8
; WaveLimiterHint : 0
; COMPUTE_PGM_RSRC2:SCRATCH_EN: 0
; COMPUTE_PGM_RSRC2:USER_SGPR: 6
; COMPUTE_PGM_RSRC2:TRAP_HANDLER: 0
; COMPUTE_PGM_RSRC2:TGID_X_EN: 1
; COMPUTE_PGM_RSRC2:TGID_Y_EN: 0
; COMPUTE_PGM_RSRC2:TGID_Z_EN: 0
; COMPUTE_PGM_RSRC2:TIDIG_COMP_CNT: 0
; COMPUTE_PGM_RSRC3_GFX90A:ACCUM_OFFSET: 2
; COMPUTE_PGM_RSRC3_GFX90A:TG_SPLIT: 0
	.section	.text._Z33tail_segmented_warp_reduce_kernelIfhLj63ELj3EENSt9enable_ifIXsr10test_utilsE35device_test_enabled_for_warp_size_vIXT2_EEEvE4typeEPT_PT0_S4_,"axG",@progbits,_Z33tail_segmented_warp_reduce_kernelIfhLj63ELj3EENSt9enable_ifIXsr10test_utilsE35device_test_enabled_for_warp_size_vIXT2_EEEvE4typeEPT_PT0_S4_,comdat
	.protected	_Z33tail_segmented_warp_reduce_kernelIfhLj63ELj3EENSt9enable_ifIXsr10test_utilsE35device_test_enabled_for_warp_size_vIXT2_EEEvE4typeEPT_PT0_S4_ ; -- Begin function _Z33tail_segmented_warp_reduce_kernelIfhLj63ELj3EENSt9enable_ifIXsr10test_utilsE35device_test_enabled_for_warp_size_vIXT2_EEEvE4typeEPT_PT0_S4_
	.globl	_Z33tail_segmented_warp_reduce_kernelIfhLj63ELj3EENSt9enable_ifIXsr10test_utilsE35device_test_enabled_for_warp_size_vIXT2_EEEvE4typeEPT_PT0_S4_
	.p2align	8
	.type	_Z33tail_segmented_warp_reduce_kernelIfhLj63ELj3EENSt9enable_ifIXsr10test_utilsE35device_test_enabled_for_warp_size_vIXT2_EEEvE4typeEPT_PT0_S4_,@function
_Z33tail_segmented_warp_reduce_kernelIfhLj63ELj3EENSt9enable_ifIXsr10test_utilsE35device_test_enabled_for_warp_size_vIXT2_EEEvE4typeEPT_PT0_S4_: ; @_Z33tail_segmented_warp_reduce_kernelIfhLj63ELj3EENSt9enable_ifIXsr10test_utilsE35device_test_enabled_for_warp_size_vIXT2_EEEvE4typeEPT_PT0_S4_
; %bb.0:
	s_load_dword s2, s[4:5], 0x24
	s_load_dwordx4 s[8:11], s[4:5], 0x0
	s_load_dwordx2 s[0:1], s[4:5], 0x10
	v_mov_b32_e32 v5, 0
	s_waitcnt lgkmcnt(0)
	s_and_b32 s2, s2, 0xffff
	s_mul_i32 s6, s6, s2
	v_add_u32_e32 v4, s6, v0
	global_load_ubyte v8, v4, s[10:11]
	v_lshlrev_b64 v[2:3], 2, v[4:5]
	v_mov_b32_e32 v1, s9
	v_add_co_u32_e32 v4, vcc, s8, v2
	v_addc_co_u32_e32 v5, vcc, v1, v3, vcc
	global_load_dword v1, v[4:5], off
	v_mbcnt_lo_u32_b32 v4, -1, 0
	s_mov_b32 s2, 0x55555556
	v_mul_u32_u24_e32 v0, 0x5556, v0
	v_mbcnt_hi_u32_b32 v4, -1, v4
	v_lshrrev_b32_e32 v5, 16, v0
	v_mul_hi_u32 v0, v4, s2
	v_lshlrev_b64 v[6:7], v4, -1
	v_mul_u32_u24_e32 v9, 3, v0
	v_sub_u32_e32 v0, v4, v9
	v_lshlrev_b32_e32 v4, 2, v0
	v_mad_u32_u24 v4, v5, 12, v4
	s_waitcnt vmcnt(1)
	v_cmp_ne_u16_e32 vcc, 0, v8
	v_and_b32_e32 v7, vcc_hi, v7
	v_and_b32_e32 v6, vcc_lo, v6
	v_lshrrev_b64 v[6:7], v9, v[6:7]
	v_or_b32_e32 v5, 4, v6
	v_ffbl_b32_e32 v6, v7
	v_add_u32_e32 v6, 32, v6
	v_ffbl_b32_e32 v5, v5
	v_min_u32_e32 v5, v5, v6
	v_cmp_lt_u32_e32 vcc, v0, v5
	s_waitcnt vmcnt(0)
	ds_write_b32 v4, v1
	; wave barrier
	s_and_saveexec_b64 s[2:3], vcc
	s_cbranch_execz .LBB201_2
; %bb.1:
	ds_read_b32 v6, v4 offset:4
	s_waitcnt lgkmcnt(0)
	v_add_f32_e32 v1, v1, v6
.LBB201_2:
	s_or_b64 exec, exec, s[2:3]
	v_add_u32_e32 v0, 2, v0
	v_cmp_le_u32_e32 vcc, v0, v5
	; wave barrier
	ds_write_b32 v4, v1
	; wave barrier
	s_and_saveexec_b64 s[2:3], vcc
	s_cbranch_execz .LBB201_4
; %bb.3:
	ds_read_b32 v0, v4 offset:8
	s_waitcnt lgkmcnt(0)
	v_add_f32_e32 v1, v1, v0
.LBB201_4:
	s_or_b64 exec, exec, s[2:3]
	v_mov_b32_e32 v0, s1
	v_add_co_u32_e32 v2, vcc, s0, v2
	v_addc_co_u32_e32 v3, vcc, v0, v3, vcc
	; wave barrier
	global_store_dword v[2:3], v1, off
	s_endpgm
	.section	.rodata,"a",@progbits
	.p2align	6, 0x0
	.amdhsa_kernel _Z33tail_segmented_warp_reduce_kernelIfhLj63ELj3EENSt9enable_ifIXsr10test_utilsE35device_test_enabled_for_warp_size_vIXT2_EEEvE4typeEPT_PT0_S4_
		.amdhsa_group_segment_fixed_size 252
		.amdhsa_private_segment_fixed_size 0
		.amdhsa_kernarg_size 280
		.amdhsa_user_sgpr_count 6
		.amdhsa_user_sgpr_private_segment_buffer 1
		.amdhsa_user_sgpr_dispatch_ptr 0
		.amdhsa_user_sgpr_queue_ptr 0
		.amdhsa_user_sgpr_kernarg_segment_ptr 1
		.amdhsa_user_sgpr_dispatch_id 0
		.amdhsa_user_sgpr_flat_scratch_init 0
		.amdhsa_user_sgpr_kernarg_preload_length 0
		.amdhsa_user_sgpr_kernarg_preload_offset 0
		.amdhsa_user_sgpr_private_segment_size 0
		.amdhsa_uses_dynamic_stack 0
		.amdhsa_system_sgpr_private_segment_wavefront_offset 0
		.amdhsa_system_sgpr_workgroup_id_x 1
		.amdhsa_system_sgpr_workgroup_id_y 0
		.amdhsa_system_sgpr_workgroup_id_z 0
		.amdhsa_system_sgpr_workgroup_info 0
		.amdhsa_system_vgpr_workitem_id 0
		.amdhsa_next_free_vgpr 10
		.amdhsa_next_free_sgpr 12
		.amdhsa_accum_offset 12
		.amdhsa_reserve_vcc 1
		.amdhsa_reserve_flat_scratch 0
		.amdhsa_float_round_mode_32 0
		.amdhsa_float_round_mode_16_64 0
		.amdhsa_float_denorm_mode_32 3
		.amdhsa_float_denorm_mode_16_64 3
		.amdhsa_dx10_clamp 1
		.amdhsa_ieee_mode 1
		.amdhsa_fp16_overflow 0
		.amdhsa_tg_split 0
		.amdhsa_exception_fp_ieee_invalid_op 0
		.amdhsa_exception_fp_denorm_src 0
		.amdhsa_exception_fp_ieee_div_zero 0
		.amdhsa_exception_fp_ieee_overflow 0
		.amdhsa_exception_fp_ieee_underflow 0
		.amdhsa_exception_fp_ieee_inexact 0
		.amdhsa_exception_int_div_zero 0
	.end_amdhsa_kernel
	.section	.text._Z33tail_segmented_warp_reduce_kernelIfhLj63ELj3EENSt9enable_ifIXsr10test_utilsE35device_test_enabled_for_warp_size_vIXT2_EEEvE4typeEPT_PT0_S4_,"axG",@progbits,_Z33tail_segmented_warp_reduce_kernelIfhLj63ELj3EENSt9enable_ifIXsr10test_utilsE35device_test_enabled_for_warp_size_vIXT2_EEEvE4typeEPT_PT0_S4_,comdat
.Lfunc_end201:
	.size	_Z33tail_segmented_warp_reduce_kernelIfhLj63ELj3EENSt9enable_ifIXsr10test_utilsE35device_test_enabled_for_warp_size_vIXT2_EEEvE4typeEPT_PT0_S4_, .Lfunc_end201-_Z33tail_segmented_warp_reduce_kernelIfhLj63ELj3EENSt9enable_ifIXsr10test_utilsE35device_test_enabled_for_warp_size_vIXT2_EEEvE4typeEPT_PT0_S4_
                                        ; -- End function
	.section	.AMDGPU.csdata,"",@progbits
; Kernel info:
; codeLenInByte = 312
; NumSgprs: 16
; NumVgprs: 10
; NumAgprs: 0
; TotalNumVgprs: 10
; ScratchSize: 0
; MemoryBound: 0
; FloatMode: 240
; IeeeMode: 1
; LDSByteSize: 252 bytes/workgroup (compile time only)
; SGPRBlocks: 1
; VGPRBlocks: 1
; NumSGPRsForWavesPerEU: 16
; NumVGPRsForWavesPerEU: 10
; AccumOffset: 12
; Occupancy: 8
; WaveLimiterHint : 0
; COMPUTE_PGM_RSRC2:SCRATCH_EN: 0
; COMPUTE_PGM_RSRC2:USER_SGPR: 6
; COMPUTE_PGM_RSRC2:TRAP_HANDLER: 0
; COMPUTE_PGM_RSRC2:TGID_X_EN: 1
; COMPUTE_PGM_RSRC2:TGID_Y_EN: 0
; COMPUTE_PGM_RSRC2:TGID_Z_EN: 0
; COMPUTE_PGM_RSRC2:TIDIG_COMP_CNT: 0
; COMPUTE_PGM_RSRC3_GFX90A:ACCUM_OFFSET: 2
; COMPUTE_PGM_RSRC3_GFX90A:TG_SPLIT: 0
	.section	.text._Z33tail_segmented_warp_reduce_kernelIihLj1ELj61EENSt9enable_ifIXsr10test_utilsE35device_test_enabled_for_warp_size_vIXT2_EEEvE4typeEPT_PT0_S4_,"axG",@progbits,_Z33tail_segmented_warp_reduce_kernelIihLj1ELj61EENSt9enable_ifIXsr10test_utilsE35device_test_enabled_for_warp_size_vIXT2_EEEvE4typeEPT_PT0_S4_,comdat
	.protected	_Z33tail_segmented_warp_reduce_kernelIihLj1ELj61EENSt9enable_ifIXsr10test_utilsE35device_test_enabled_for_warp_size_vIXT2_EEEvE4typeEPT_PT0_S4_ ; -- Begin function _Z33tail_segmented_warp_reduce_kernelIihLj1ELj61EENSt9enable_ifIXsr10test_utilsE35device_test_enabled_for_warp_size_vIXT2_EEEvE4typeEPT_PT0_S4_
	.globl	_Z33tail_segmented_warp_reduce_kernelIihLj1ELj61EENSt9enable_ifIXsr10test_utilsE35device_test_enabled_for_warp_size_vIXT2_EEEvE4typeEPT_PT0_S4_
	.p2align	8
	.type	_Z33tail_segmented_warp_reduce_kernelIihLj1ELj61EENSt9enable_ifIXsr10test_utilsE35device_test_enabled_for_warp_size_vIXT2_EEEvE4typeEPT_PT0_S4_,@function
_Z33tail_segmented_warp_reduce_kernelIihLj1ELj61EENSt9enable_ifIXsr10test_utilsE35device_test_enabled_for_warp_size_vIXT2_EEEvE4typeEPT_PT0_S4_: ; @_Z33tail_segmented_warp_reduce_kernelIihLj1ELj61EENSt9enable_ifIXsr10test_utilsE35device_test_enabled_for_warp_size_vIXT2_EEEvE4typeEPT_PT0_S4_
; %bb.0:
	s_load_dword s0, s[4:5], 0x24
	s_load_dwordx4 s[8:11], s[4:5], 0x0
	s_mov_b32 s1, 0
	s_mov_b32 s2, 0x4325c54
	s_waitcnt lgkmcnt(0)
	s_and_b32 s0, s0, 0xffff
	s_mul_i32 s0, s6, s0
	v_mov_b32_e32 v0, s0
	global_load_ubyte v1, v0, s[10:11]
	v_mbcnt_lo_u32_b32 v0, -1, 0
	v_mbcnt_hi_u32_b32 v0, -1, v0
	v_mul_hi_u32 v4, v0, s2
	v_lshlrev_b64 v[2:3], v0, -1
	s_lshl_b64 s[0:1], s[0:1], 2
	s_add_u32 s2, s8, s0
	v_mul_u32_u24_e32 v4, 61, v4
	s_addc_u32 s3, s9, s1
	s_load_dword s2, s[2:3], 0x0
	v_sub_u32_e32 v5, v0, v4
	v_readfirstlane_b32 s6, v5
	v_lshlrev_b32_e32 v0, 2, v5
	s_waitcnt lgkmcnt(0)
	v_mov_b32_e32 v6, s2
	ds_write_b32 v0, v6
	; wave barrier
	s_waitcnt vmcnt(0)
	v_cmp_ne_u16_e32 vcc, 0, v1
	v_and_b32_e32 v3, vcc_hi, v3
	v_and_b32_e32 v2, vcc_lo, v2
	v_lshrrev_b64 v[2:3], v4, v[2:3]
	v_or_b32_e32 v1, 0x10000000, v3
	v_ffbl_b32_e32 v1, v1
	v_ffbl_b32_e32 v2, v2
	v_add_u32_e32 v1, 32, v1
	v_min_u32_e32 v1, v2, v1
	v_cmp_ge_u32_e32 vcc, v5, v1
	v_readfirstlane_b32 s7, v1
	s_and_b64 s[8:9], vcc, exec
	s_cbranch_scc1 .LBB202_2
; %bb.1:
	ds_read_b32 v1, v0 offset:4
	s_waitcnt lgkmcnt(0)
	v_add_u32_e32 v1, s2, v1
	s_branch .LBB202_3
.LBB202_2:
	v_mov_b32_e32 v1, s2
.LBB202_3:
	s_add_i32 s2, s6, 2
	s_cmp_gt_u32 s2, s7
	; wave barrier
	ds_write_b32 v0, v1
	; wave barrier
	s_cbranch_scc1 .LBB202_5
; %bb.4:
	ds_read_b32 v2, v0 offset:8
	s_waitcnt lgkmcnt(0)
	v_add_u32_e32 v1, v2, v1
.LBB202_5:
	s_add_i32 s2, s6, 4
	s_cmp_gt_u32 s2, s7
	; wave barrier
	ds_write_b32 v0, v1
	; wave barrier
	s_cbranch_scc1 .LBB202_7
; %bb.6:
	ds_read_b32 v2, v0 offset:16
	s_waitcnt lgkmcnt(0)
	v_add_u32_e32 v1, v2, v1
.LBB202_7:
	s_load_dwordx2 s[2:3], s[4:5], 0x10
	s_add_i32 s4, s6, 8
	s_cmp_gt_u32 s4, s7
	; wave barrier
	ds_write_b32 v0, v1
	; wave barrier
	s_cbranch_scc1 .LBB202_9
; %bb.8:
	ds_read_b32 v2, v0 offset:32
	s_waitcnt lgkmcnt(0)
	v_add_u32_e32 v1, v2, v1
.LBB202_9:
	s_add_i32 s4, s6, 16
	s_cmp_gt_u32 s4, s7
	; wave barrier
	ds_write_b32 v0, v1
	; wave barrier
	s_cbranch_scc1 .LBB202_11
; %bb.10:
	ds_read_b32 v2, v0 offset:64
	s_waitcnt lgkmcnt(0)
	v_add_u32_e32 v1, v2, v1
.LBB202_11:
	;; [unrolled: 11-line block ×3, first 2 shown]
	s_waitcnt lgkmcnt(0)
	s_add_u32 s0, s2, s0
	s_addc_u32 s1, s3, s1
	v_mov_b32_e32 v0, 0
	; wave barrier
	global_store_dword v0, v1, s[0:1]
	s_endpgm
	.section	.rodata,"a",@progbits
	.p2align	6, 0x0
	.amdhsa_kernel _Z33tail_segmented_warp_reduce_kernelIihLj1ELj61EENSt9enable_ifIXsr10test_utilsE35device_test_enabled_for_warp_size_vIXT2_EEEvE4typeEPT_PT0_S4_
		.amdhsa_group_segment_fixed_size 244
		.amdhsa_private_segment_fixed_size 0
		.amdhsa_kernarg_size 280
		.amdhsa_user_sgpr_count 6
		.amdhsa_user_sgpr_private_segment_buffer 1
		.amdhsa_user_sgpr_dispatch_ptr 0
		.amdhsa_user_sgpr_queue_ptr 0
		.amdhsa_user_sgpr_kernarg_segment_ptr 1
		.amdhsa_user_sgpr_dispatch_id 0
		.amdhsa_user_sgpr_flat_scratch_init 0
		.amdhsa_user_sgpr_kernarg_preload_length 0
		.amdhsa_user_sgpr_kernarg_preload_offset 0
		.amdhsa_user_sgpr_private_segment_size 0
		.amdhsa_uses_dynamic_stack 0
		.amdhsa_system_sgpr_private_segment_wavefront_offset 0
		.amdhsa_system_sgpr_workgroup_id_x 1
		.amdhsa_system_sgpr_workgroup_id_y 0
		.amdhsa_system_sgpr_workgroup_id_z 0
		.amdhsa_system_sgpr_workgroup_info 0
		.amdhsa_system_vgpr_workitem_id 0
		.amdhsa_next_free_vgpr 7
		.amdhsa_next_free_sgpr 12
		.amdhsa_accum_offset 8
		.amdhsa_reserve_vcc 1
		.amdhsa_reserve_flat_scratch 0
		.amdhsa_float_round_mode_32 0
		.amdhsa_float_round_mode_16_64 0
		.amdhsa_float_denorm_mode_32 3
		.amdhsa_float_denorm_mode_16_64 3
		.amdhsa_dx10_clamp 1
		.amdhsa_ieee_mode 1
		.amdhsa_fp16_overflow 0
		.amdhsa_tg_split 0
		.amdhsa_exception_fp_ieee_invalid_op 0
		.amdhsa_exception_fp_denorm_src 0
		.amdhsa_exception_fp_ieee_div_zero 0
		.amdhsa_exception_fp_ieee_overflow 0
		.amdhsa_exception_fp_ieee_underflow 0
		.amdhsa_exception_fp_ieee_inexact 0
		.amdhsa_exception_int_div_zero 0
	.end_amdhsa_kernel
	.section	.text._Z33tail_segmented_warp_reduce_kernelIihLj1ELj61EENSt9enable_ifIXsr10test_utilsE35device_test_enabled_for_warp_size_vIXT2_EEEvE4typeEPT_PT0_S4_,"axG",@progbits,_Z33tail_segmented_warp_reduce_kernelIihLj1ELj61EENSt9enable_ifIXsr10test_utilsE35device_test_enabled_for_warp_size_vIXT2_EEEvE4typeEPT_PT0_S4_,comdat
.Lfunc_end202:
	.size	_Z33tail_segmented_warp_reduce_kernelIihLj1ELj61EENSt9enable_ifIXsr10test_utilsE35device_test_enabled_for_warp_size_vIXT2_EEEvE4typeEPT_PT0_S4_, .Lfunc_end202-_Z33tail_segmented_warp_reduce_kernelIihLj1ELj61EENSt9enable_ifIXsr10test_utilsE35device_test_enabled_for_warp_size_vIXT2_EEEvE4typeEPT_PT0_S4_
                                        ; -- End function
	.section	.AMDGPU.csdata,"",@progbits
; Kernel info:
; codeLenInByte = 444
; NumSgprs: 16
; NumVgprs: 7
; NumAgprs: 0
; TotalNumVgprs: 7
; ScratchSize: 0
; MemoryBound: 0
; FloatMode: 240
; IeeeMode: 1
; LDSByteSize: 244 bytes/workgroup (compile time only)
; SGPRBlocks: 1
; VGPRBlocks: 0
; NumSGPRsForWavesPerEU: 16
; NumVGPRsForWavesPerEU: 7
; AccumOffset: 8
; Occupancy: 8
; WaveLimiterHint : 0
; COMPUTE_PGM_RSRC2:SCRATCH_EN: 0
; COMPUTE_PGM_RSRC2:USER_SGPR: 6
; COMPUTE_PGM_RSRC2:TRAP_HANDLER: 0
; COMPUTE_PGM_RSRC2:TGID_X_EN: 1
; COMPUTE_PGM_RSRC2:TGID_Y_EN: 0
; COMPUTE_PGM_RSRC2:TGID_Z_EN: 0
; COMPUTE_PGM_RSRC2:TIDIG_COMP_CNT: 0
; COMPUTE_PGM_RSRC3_GFX90A:ACCUM_OFFSET: 1
; COMPUTE_PGM_RSRC3_GFX90A:TG_SPLIT: 0
	.section	.text._Z33tail_segmented_warp_reduce_kernelIihLj61ELj61EENSt9enable_ifIXsr10test_utilsE35device_test_enabled_for_warp_size_vIXT2_EEEvE4typeEPT_PT0_S4_,"axG",@progbits,_Z33tail_segmented_warp_reduce_kernelIihLj61ELj61EENSt9enable_ifIXsr10test_utilsE35device_test_enabled_for_warp_size_vIXT2_EEEvE4typeEPT_PT0_S4_,comdat
	.protected	_Z33tail_segmented_warp_reduce_kernelIihLj61ELj61EENSt9enable_ifIXsr10test_utilsE35device_test_enabled_for_warp_size_vIXT2_EEEvE4typeEPT_PT0_S4_ ; -- Begin function _Z33tail_segmented_warp_reduce_kernelIihLj61ELj61EENSt9enable_ifIXsr10test_utilsE35device_test_enabled_for_warp_size_vIXT2_EEEvE4typeEPT_PT0_S4_
	.globl	_Z33tail_segmented_warp_reduce_kernelIihLj61ELj61EENSt9enable_ifIXsr10test_utilsE35device_test_enabled_for_warp_size_vIXT2_EEEvE4typeEPT_PT0_S4_
	.p2align	8
	.type	_Z33tail_segmented_warp_reduce_kernelIihLj61ELj61EENSt9enable_ifIXsr10test_utilsE35device_test_enabled_for_warp_size_vIXT2_EEEvE4typeEPT_PT0_S4_,@function
_Z33tail_segmented_warp_reduce_kernelIihLj61ELj61EENSt9enable_ifIXsr10test_utilsE35device_test_enabled_for_warp_size_vIXT2_EEEvE4typeEPT_PT0_S4_: ; @_Z33tail_segmented_warp_reduce_kernelIihLj61ELj61EENSt9enable_ifIXsr10test_utilsE35device_test_enabled_for_warp_size_vIXT2_EEEvE4typeEPT_PT0_S4_
; %bb.0:
	s_load_dword s7, s[4:5], 0x24
	s_load_dwordx4 s[0:3], s[4:5], 0x0
	v_mov_b32_e32 v5, 0
	s_waitcnt lgkmcnt(0)
	s_and_b32 s7, s7, 0xffff
	s_mul_i32 s6, s6, s7
	v_add_u32_e32 v4, s6, v0
	global_load_ubyte v8, v4, s[2:3]
	v_lshlrev_b64 v[2:3], 2, v[4:5]
	v_mov_b32_e32 v1, s1
	v_add_co_u32_e32 v4, vcc, s0, v2
	v_addc_co_u32_e32 v5, vcc, v1, v3, vcc
	global_load_dword v1, v[4:5], off
	v_mbcnt_lo_u32_b32 v4, -1, 0
	s_mov_b32 s0, 0x4325c54
	v_mbcnt_hi_u32_b32 v4, -1, v4
	v_mul_hi_u32 v5, v4, s0
	v_lshlrev_b64 v[6:7], v4, -1
	v_mul_u32_u24_e32 v5, 61, v5
	v_sub_u32_e32 v4, v4, v5
	v_mul_u32_u24_e32 v0, 0x433, v0
	s_movk_i32 s1, 0xf4
	v_lshrrev_b32_e32 v0, 16, v0
	v_lshlrev_b32_e32 v9, 2, v4
	v_mad_u32_u24 v0, v0, s1, v9
	s_waitcnt vmcnt(1)
	v_cmp_ne_u16_e32 vcc, 0, v8
	v_and_b32_e32 v7, vcc_hi, v7
	v_and_b32_e32 v6, vcc_lo, v6
	v_lshrrev_b64 v[6:7], v5, v[6:7]
	v_or_b32_e32 v5, 0x10000000, v7
	v_ffbl_b32_e32 v5, v5
	v_ffbl_b32_e32 v6, v6
	v_add_u32_e32 v5, 32, v5
	v_min_u32_e32 v5, v6, v5
	v_cmp_lt_u32_e32 vcc, v4, v5
	s_waitcnt vmcnt(0)
	ds_write_b32 v0, v1
	; wave barrier
	s_and_saveexec_b64 s[0:1], vcc
	s_cbranch_execz .LBB203_2
; %bb.1:
	ds_read_b32 v6, v0 offset:4
	s_waitcnt lgkmcnt(0)
	v_add_u32_e32 v1, v6, v1
.LBB203_2:
	s_or_b64 exec, exec, s[0:1]
	v_add_u32_e32 v6, 2, v4
	v_cmp_le_u32_e32 vcc, v6, v5
	; wave barrier
	ds_write_b32 v0, v1
	; wave barrier
	s_and_saveexec_b64 s[0:1], vcc
	s_cbranch_execz .LBB203_4
; %bb.3:
	ds_read_b32 v6, v0 offset:8
	s_waitcnt lgkmcnt(0)
	v_add_u32_e32 v1, v6, v1
.LBB203_4:
	s_or_b64 exec, exec, s[0:1]
	v_add_u32_e32 v6, 4, v4
	v_cmp_le_u32_e32 vcc, v6, v5
	; wave barrier
	ds_write_b32 v0, v1
	; wave barrier
	s_and_saveexec_b64 s[0:1], vcc
	s_cbranch_execz .LBB203_6
; %bb.5:
	ds_read_b32 v6, v0 offset:16
	s_waitcnt lgkmcnt(0)
	v_add_u32_e32 v1, v6, v1
.LBB203_6:
	s_or_b64 exec, exec, s[0:1]
	s_load_dwordx2 s[0:1], s[4:5], 0x10
	v_add_u32_e32 v6, 8, v4
	v_cmp_le_u32_e32 vcc, v6, v5
	; wave barrier
	ds_write_b32 v0, v1
	; wave barrier
	s_and_saveexec_b64 s[2:3], vcc
	s_cbranch_execz .LBB203_8
; %bb.7:
	ds_read_b32 v6, v0 offset:32
	s_waitcnt lgkmcnt(0)
	v_add_u32_e32 v1, v6, v1
.LBB203_8:
	s_or_b64 exec, exec, s[2:3]
	v_add_u32_e32 v6, 16, v4
	v_cmp_le_u32_e32 vcc, v6, v5
	; wave barrier
	ds_write_b32 v0, v1
	; wave barrier
	s_and_saveexec_b64 s[2:3], vcc
	s_cbranch_execz .LBB203_10
; %bb.9:
	ds_read_b32 v6, v0 offset:64
	s_waitcnt lgkmcnt(0)
	v_add_u32_e32 v1, v6, v1
.LBB203_10:
	s_or_b64 exec, exec, s[2:3]
	;; [unrolled: 13-line block ×3, first 2 shown]
	s_waitcnt lgkmcnt(0)
	v_mov_b32_e32 v0, s1
	v_add_co_u32_e32 v2, vcc, s0, v2
	v_addc_co_u32_e32 v3, vcc, v0, v3, vcc
	; wave barrier
	global_store_dword v[2:3], v1, off
	s_endpgm
	.section	.rodata,"a",@progbits
	.p2align	6, 0x0
	.amdhsa_kernel _Z33tail_segmented_warp_reduce_kernelIihLj61ELj61EENSt9enable_ifIXsr10test_utilsE35device_test_enabled_for_warp_size_vIXT2_EEEvE4typeEPT_PT0_S4_
		.amdhsa_group_segment_fixed_size 244
		.amdhsa_private_segment_fixed_size 0
		.amdhsa_kernarg_size 280
		.amdhsa_user_sgpr_count 6
		.amdhsa_user_sgpr_private_segment_buffer 1
		.amdhsa_user_sgpr_dispatch_ptr 0
		.amdhsa_user_sgpr_queue_ptr 0
		.amdhsa_user_sgpr_kernarg_segment_ptr 1
		.amdhsa_user_sgpr_dispatch_id 0
		.amdhsa_user_sgpr_flat_scratch_init 0
		.amdhsa_user_sgpr_kernarg_preload_length 0
		.amdhsa_user_sgpr_kernarg_preload_offset 0
		.amdhsa_user_sgpr_private_segment_size 0
		.amdhsa_uses_dynamic_stack 0
		.amdhsa_system_sgpr_private_segment_wavefront_offset 0
		.amdhsa_system_sgpr_workgroup_id_x 1
		.amdhsa_system_sgpr_workgroup_id_y 0
		.amdhsa_system_sgpr_workgroup_id_z 0
		.amdhsa_system_sgpr_workgroup_info 0
		.amdhsa_system_vgpr_workitem_id 0
		.amdhsa_next_free_vgpr 10
		.amdhsa_next_free_sgpr 8
		.amdhsa_accum_offset 12
		.amdhsa_reserve_vcc 1
		.amdhsa_reserve_flat_scratch 0
		.amdhsa_float_round_mode_32 0
		.amdhsa_float_round_mode_16_64 0
		.amdhsa_float_denorm_mode_32 3
		.amdhsa_float_denorm_mode_16_64 3
		.amdhsa_dx10_clamp 1
		.amdhsa_ieee_mode 1
		.amdhsa_fp16_overflow 0
		.amdhsa_tg_split 0
		.amdhsa_exception_fp_ieee_invalid_op 0
		.amdhsa_exception_fp_denorm_src 0
		.amdhsa_exception_fp_ieee_div_zero 0
		.amdhsa_exception_fp_ieee_overflow 0
		.amdhsa_exception_fp_ieee_underflow 0
		.amdhsa_exception_fp_ieee_inexact 0
		.amdhsa_exception_int_div_zero 0
	.end_amdhsa_kernel
	.section	.text._Z33tail_segmented_warp_reduce_kernelIihLj61ELj61EENSt9enable_ifIXsr10test_utilsE35device_test_enabled_for_warp_size_vIXT2_EEEvE4typeEPT_PT0_S4_,"axG",@progbits,_Z33tail_segmented_warp_reduce_kernelIihLj61ELj61EENSt9enable_ifIXsr10test_utilsE35device_test_enabled_for_warp_size_vIXT2_EEEvE4typeEPT_PT0_S4_,comdat
.Lfunc_end203:
	.size	_Z33tail_segmented_warp_reduce_kernelIihLj61ELj61EENSt9enable_ifIXsr10test_utilsE35device_test_enabled_for_warp_size_vIXT2_EEEvE4typeEPT_PT0_S4_, .Lfunc_end203-_Z33tail_segmented_warp_reduce_kernelIihLj61ELj61EENSt9enable_ifIXsr10test_utilsE35device_test_enabled_for_warp_size_vIXT2_EEEvE4typeEPT_PT0_S4_
                                        ; -- End function
	.section	.AMDGPU.csdata,"",@progbits
; Kernel info:
; codeLenInByte = 500
; NumSgprs: 12
; NumVgprs: 10
; NumAgprs: 0
; TotalNumVgprs: 10
; ScratchSize: 0
; MemoryBound: 0
; FloatMode: 240
; IeeeMode: 1
; LDSByteSize: 244 bytes/workgroup (compile time only)
; SGPRBlocks: 1
; VGPRBlocks: 1
; NumSGPRsForWavesPerEU: 12
; NumVGPRsForWavesPerEU: 10
; AccumOffset: 12
; Occupancy: 8
; WaveLimiterHint : 0
; COMPUTE_PGM_RSRC2:SCRATCH_EN: 0
; COMPUTE_PGM_RSRC2:USER_SGPR: 6
; COMPUTE_PGM_RSRC2:TRAP_HANDLER: 0
; COMPUTE_PGM_RSRC2:TGID_X_EN: 1
; COMPUTE_PGM_RSRC2:TGID_Y_EN: 0
; COMPUTE_PGM_RSRC2:TGID_Z_EN: 0
; COMPUTE_PGM_RSRC2:TIDIG_COMP_CNT: 0
; COMPUTE_PGM_RSRC3_GFX90A:ACCUM_OFFSET: 2
; COMPUTE_PGM_RSRC3_GFX90A:TG_SPLIT: 0
	.section	.text._Z33tail_segmented_warp_reduce_kernelIihLj1ELj37EENSt9enable_ifIXsr10test_utilsE35device_test_enabled_for_warp_size_vIXT2_EEEvE4typeEPT_PT0_S4_,"axG",@progbits,_Z33tail_segmented_warp_reduce_kernelIihLj1ELj37EENSt9enable_ifIXsr10test_utilsE35device_test_enabled_for_warp_size_vIXT2_EEEvE4typeEPT_PT0_S4_,comdat
	.protected	_Z33tail_segmented_warp_reduce_kernelIihLj1ELj37EENSt9enable_ifIXsr10test_utilsE35device_test_enabled_for_warp_size_vIXT2_EEEvE4typeEPT_PT0_S4_ ; -- Begin function _Z33tail_segmented_warp_reduce_kernelIihLj1ELj37EENSt9enable_ifIXsr10test_utilsE35device_test_enabled_for_warp_size_vIXT2_EEEvE4typeEPT_PT0_S4_
	.globl	_Z33tail_segmented_warp_reduce_kernelIihLj1ELj37EENSt9enable_ifIXsr10test_utilsE35device_test_enabled_for_warp_size_vIXT2_EEEvE4typeEPT_PT0_S4_
	.p2align	8
	.type	_Z33tail_segmented_warp_reduce_kernelIihLj1ELj37EENSt9enable_ifIXsr10test_utilsE35device_test_enabled_for_warp_size_vIXT2_EEEvE4typeEPT_PT0_S4_,@function
_Z33tail_segmented_warp_reduce_kernelIihLj1ELj37EENSt9enable_ifIXsr10test_utilsE35device_test_enabled_for_warp_size_vIXT2_EEEvE4typeEPT_PT0_S4_: ; @_Z33tail_segmented_warp_reduce_kernelIihLj1ELj37EENSt9enable_ifIXsr10test_utilsE35device_test_enabled_for_warp_size_vIXT2_EEEvE4typeEPT_PT0_S4_
; %bb.0:
	s_load_dword s0, s[4:5], 0x24
	s_load_dwordx4 s[8:11], s[4:5], 0x0
	s_mov_b32 s1, 0
	s_mov_b32 s2, 0x6eb3e46
	s_waitcnt lgkmcnt(0)
	s_and_b32 s0, s0, 0xffff
	s_mul_i32 s0, s6, s0
	v_mov_b32_e32 v0, s0
	global_load_ubyte v1, v0, s[10:11]
	v_mbcnt_lo_u32_b32 v0, -1, 0
	v_mbcnt_hi_u32_b32 v0, -1, v0
	v_mul_hi_u32 v4, v0, s2
	v_lshlrev_b64 v[2:3], v0, -1
	s_lshl_b64 s[0:1], s[0:1], 2
	s_add_u32 s2, s8, s0
	v_mul_u32_u24_e32 v4, 37, v4
	s_addc_u32 s3, s9, s1
	s_load_dword s2, s[2:3], 0x0
	v_sub_u32_e32 v5, v0, v4
	v_readfirstlane_b32 s6, v5
	v_lshlrev_b32_e32 v0, 2, v5
	s_waitcnt lgkmcnt(0)
	v_mov_b32_e32 v6, s2
	ds_write_b32 v0, v6
	; wave barrier
	s_waitcnt vmcnt(0)
	v_cmp_ne_u16_e32 vcc, 0, v1
	v_and_b32_e32 v3, vcc_hi, v3
	v_and_b32_e32 v2, vcc_lo, v2
	v_lshrrev_b64 v[2:3], v4, v[2:3]
	v_or_b32_e32 v1, 16, v3
	v_ffbl_b32_e32 v1, v1
	v_ffbl_b32_e32 v2, v2
	v_add_u32_e32 v1, 32, v1
	v_min_u32_e32 v1, v2, v1
	v_cmp_ge_u32_e32 vcc, v5, v1
	v_readfirstlane_b32 s7, v1
	s_and_b64 s[8:9], vcc, exec
	s_cbranch_scc1 .LBB204_2
; %bb.1:
	ds_read_b32 v1, v0 offset:4
	s_waitcnt lgkmcnt(0)
	v_add_u32_e32 v1, s2, v1
	s_branch .LBB204_3
.LBB204_2:
	v_mov_b32_e32 v1, s2
.LBB204_3:
	s_add_i32 s2, s6, 2
	s_cmp_gt_u32 s2, s7
	; wave barrier
	ds_write_b32 v0, v1
	; wave barrier
	s_cbranch_scc1 .LBB204_5
; %bb.4:
	ds_read_b32 v2, v0 offset:8
	s_waitcnt lgkmcnt(0)
	v_add_u32_e32 v1, v2, v1
.LBB204_5:
	s_add_i32 s2, s6, 4
	s_cmp_gt_u32 s2, s7
	; wave barrier
	ds_write_b32 v0, v1
	; wave barrier
	s_cbranch_scc1 .LBB204_7
; %bb.6:
	ds_read_b32 v2, v0 offset:16
	s_waitcnt lgkmcnt(0)
	v_add_u32_e32 v1, v2, v1
.LBB204_7:
	s_load_dwordx2 s[2:3], s[4:5], 0x10
	s_add_i32 s4, s6, 8
	s_cmp_gt_u32 s4, s7
	; wave barrier
	ds_write_b32 v0, v1
	; wave barrier
	s_cbranch_scc1 .LBB204_9
; %bb.8:
	ds_read_b32 v2, v0 offset:32
	s_waitcnt lgkmcnt(0)
	v_add_u32_e32 v1, v2, v1
.LBB204_9:
	s_add_i32 s4, s6, 16
	s_cmp_gt_u32 s4, s7
	; wave barrier
	ds_write_b32 v0, v1
	; wave barrier
	s_cbranch_scc1 .LBB204_11
; %bb.10:
	ds_read_b32 v2, v0 offset:64
	s_waitcnt lgkmcnt(0)
	v_add_u32_e32 v1, v2, v1
.LBB204_11:
	;; [unrolled: 11-line block ×3, first 2 shown]
	s_waitcnt lgkmcnt(0)
	s_add_u32 s0, s2, s0
	s_addc_u32 s1, s3, s1
	v_mov_b32_e32 v0, 0
	; wave barrier
	global_store_dword v0, v1, s[0:1]
	s_endpgm
	.section	.rodata,"a",@progbits
	.p2align	6, 0x0
	.amdhsa_kernel _Z33tail_segmented_warp_reduce_kernelIihLj1ELj37EENSt9enable_ifIXsr10test_utilsE35device_test_enabled_for_warp_size_vIXT2_EEEvE4typeEPT_PT0_S4_
		.amdhsa_group_segment_fixed_size 148
		.amdhsa_private_segment_fixed_size 0
		.amdhsa_kernarg_size 280
		.amdhsa_user_sgpr_count 6
		.amdhsa_user_sgpr_private_segment_buffer 1
		.amdhsa_user_sgpr_dispatch_ptr 0
		.amdhsa_user_sgpr_queue_ptr 0
		.amdhsa_user_sgpr_kernarg_segment_ptr 1
		.amdhsa_user_sgpr_dispatch_id 0
		.amdhsa_user_sgpr_flat_scratch_init 0
		.amdhsa_user_sgpr_kernarg_preload_length 0
		.amdhsa_user_sgpr_kernarg_preload_offset 0
		.amdhsa_user_sgpr_private_segment_size 0
		.amdhsa_uses_dynamic_stack 0
		.amdhsa_system_sgpr_private_segment_wavefront_offset 0
		.amdhsa_system_sgpr_workgroup_id_x 1
		.amdhsa_system_sgpr_workgroup_id_y 0
		.amdhsa_system_sgpr_workgroup_id_z 0
		.amdhsa_system_sgpr_workgroup_info 0
		.amdhsa_system_vgpr_workitem_id 0
		.amdhsa_next_free_vgpr 7
		.amdhsa_next_free_sgpr 12
		.amdhsa_accum_offset 8
		.amdhsa_reserve_vcc 1
		.amdhsa_reserve_flat_scratch 0
		.amdhsa_float_round_mode_32 0
		.amdhsa_float_round_mode_16_64 0
		.amdhsa_float_denorm_mode_32 3
		.amdhsa_float_denorm_mode_16_64 3
		.amdhsa_dx10_clamp 1
		.amdhsa_ieee_mode 1
		.amdhsa_fp16_overflow 0
		.amdhsa_tg_split 0
		.amdhsa_exception_fp_ieee_invalid_op 0
		.amdhsa_exception_fp_denorm_src 0
		.amdhsa_exception_fp_ieee_div_zero 0
		.amdhsa_exception_fp_ieee_overflow 0
		.amdhsa_exception_fp_ieee_underflow 0
		.amdhsa_exception_fp_ieee_inexact 0
		.amdhsa_exception_int_div_zero 0
	.end_amdhsa_kernel
	.section	.text._Z33tail_segmented_warp_reduce_kernelIihLj1ELj37EENSt9enable_ifIXsr10test_utilsE35device_test_enabled_for_warp_size_vIXT2_EEEvE4typeEPT_PT0_S4_,"axG",@progbits,_Z33tail_segmented_warp_reduce_kernelIihLj1ELj37EENSt9enable_ifIXsr10test_utilsE35device_test_enabled_for_warp_size_vIXT2_EEEvE4typeEPT_PT0_S4_,comdat
.Lfunc_end204:
	.size	_Z33tail_segmented_warp_reduce_kernelIihLj1ELj37EENSt9enable_ifIXsr10test_utilsE35device_test_enabled_for_warp_size_vIXT2_EEEvE4typeEPT_PT0_S4_, .Lfunc_end204-_Z33tail_segmented_warp_reduce_kernelIihLj1ELj37EENSt9enable_ifIXsr10test_utilsE35device_test_enabled_for_warp_size_vIXT2_EEEvE4typeEPT_PT0_S4_
                                        ; -- End function
	.section	.AMDGPU.csdata,"",@progbits
; Kernel info:
; codeLenInByte = 440
; NumSgprs: 16
; NumVgprs: 7
; NumAgprs: 0
; TotalNumVgprs: 7
; ScratchSize: 0
; MemoryBound: 0
; FloatMode: 240
; IeeeMode: 1
; LDSByteSize: 148 bytes/workgroup (compile time only)
; SGPRBlocks: 1
; VGPRBlocks: 0
; NumSGPRsForWavesPerEU: 16
; NumVGPRsForWavesPerEU: 7
; AccumOffset: 8
; Occupancy: 8
; WaveLimiterHint : 0
; COMPUTE_PGM_RSRC2:SCRATCH_EN: 0
; COMPUTE_PGM_RSRC2:USER_SGPR: 6
; COMPUTE_PGM_RSRC2:TRAP_HANDLER: 0
; COMPUTE_PGM_RSRC2:TGID_X_EN: 1
; COMPUTE_PGM_RSRC2:TGID_Y_EN: 0
; COMPUTE_PGM_RSRC2:TGID_Z_EN: 0
; COMPUTE_PGM_RSRC2:TIDIG_COMP_CNT: 0
; COMPUTE_PGM_RSRC3_GFX90A:ACCUM_OFFSET: 1
; COMPUTE_PGM_RSRC3_GFX90A:TG_SPLIT: 0
	.section	.text._Z33tail_segmented_warp_reduce_kernelIihLj37ELj37EENSt9enable_ifIXsr10test_utilsE35device_test_enabled_for_warp_size_vIXT2_EEEvE4typeEPT_PT0_S4_,"axG",@progbits,_Z33tail_segmented_warp_reduce_kernelIihLj37ELj37EENSt9enable_ifIXsr10test_utilsE35device_test_enabled_for_warp_size_vIXT2_EEEvE4typeEPT_PT0_S4_,comdat
	.protected	_Z33tail_segmented_warp_reduce_kernelIihLj37ELj37EENSt9enable_ifIXsr10test_utilsE35device_test_enabled_for_warp_size_vIXT2_EEEvE4typeEPT_PT0_S4_ ; -- Begin function _Z33tail_segmented_warp_reduce_kernelIihLj37ELj37EENSt9enable_ifIXsr10test_utilsE35device_test_enabled_for_warp_size_vIXT2_EEEvE4typeEPT_PT0_S4_
	.globl	_Z33tail_segmented_warp_reduce_kernelIihLj37ELj37EENSt9enable_ifIXsr10test_utilsE35device_test_enabled_for_warp_size_vIXT2_EEEvE4typeEPT_PT0_S4_
	.p2align	8
	.type	_Z33tail_segmented_warp_reduce_kernelIihLj37ELj37EENSt9enable_ifIXsr10test_utilsE35device_test_enabled_for_warp_size_vIXT2_EEEvE4typeEPT_PT0_S4_,@function
_Z33tail_segmented_warp_reduce_kernelIihLj37ELj37EENSt9enable_ifIXsr10test_utilsE35device_test_enabled_for_warp_size_vIXT2_EEEvE4typeEPT_PT0_S4_: ; @_Z33tail_segmented_warp_reduce_kernelIihLj37ELj37EENSt9enable_ifIXsr10test_utilsE35device_test_enabled_for_warp_size_vIXT2_EEEvE4typeEPT_PT0_S4_
; %bb.0:
	s_load_dword s7, s[4:5], 0x24
	s_load_dwordx4 s[0:3], s[4:5], 0x0
	v_mov_b32_e32 v5, 0
	s_waitcnt lgkmcnt(0)
	s_and_b32 s7, s7, 0xffff
	s_mul_i32 s6, s6, s7
	v_add_u32_e32 v4, s6, v0
	global_load_ubyte v8, v4, s[2:3]
	v_lshlrev_b64 v[2:3], 2, v[4:5]
	v_mov_b32_e32 v1, s1
	v_add_co_u32_e32 v4, vcc, s0, v2
	v_addc_co_u32_e32 v5, vcc, v1, v3, vcc
	global_load_dword v1, v[4:5], off
	v_mbcnt_lo_u32_b32 v4, -1, 0
	s_mov_b32 s0, 0x6eb3e46
	v_mbcnt_hi_u32_b32 v4, -1, v4
	v_mul_hi_u32 v5, v4, s0
	v_lshlrev_b64 v[6:7], v4, -1
	v_mul_u32_u24_e32 v5, 37, v5
	v_sub_u32_e32 v4, v4, v5
	v_mul_u32_u24_e32 v0, 0x6ec, v0
	s_movk_i32 s1, 0x94
	v_lshrrev_b32_e32 v0, 16, v0
	v_lshlrev_b32_e32 v9, 2, v4
	v_mad_u32_u24 v0, v0, s1, v9
	s_waitcnt vmcnt(1)
	v_cmp_ne_u16_e32 vcc, 0, v8
	v_and_b32_e32 v7, vcc_hi, v7
	v_and_b32_e32 v6, vcc_lo, v6
	v_lshrrev_b64 v[6:7], v5, v[6:7]
	v_or_b32_e32 v5, 16, v7
	v_ffbl_b32_e32 v5, v5
	v_ffbl_b32_e32 v6, v6
	v_add_u32_e32 v5, 32, v5
	v_min_u32_e32 v5, v6, v5
	v_cmp_lt_u32_e32 vcc, v4, v5
	s_waitcnt vmcnt(0)
	ds_write_b32 v0, v1
	; wave barrier
	s_and_saveexec_b64 s[0:1], vcc
	s_cbranch_execz .LBB205_2
; %bb.1:
	ds_read_b32 v6, v0 offset:4
	s_waitcnt lgkmcnt(0)
	v_add_u32_e32 v1, v6, v1
.LBB205_2:
	s_or_b64 exec, exec, s[0:1]
	v_add_u32_e32 v6, 2, v4
	v_cmp_le_u32_e32 vcc, v6, v5
	; wave barrier
	ds_write_b32 v0, v1
	; wave barrier
	s_and_saveexec_b64 s[0:1], vcc
	s_cbranch_execz .LBB205_4
; %bb.3:
	ds_read_b32 v6, v0 offset:8
	s_waitcnt lgkmcnt(0)
	v_add_u32_e32 v1, v6, v1
.LBB205_4:
	s_or_b64 exec, exec, s[0:1]
	v_add_u32_e32 v6, 4, v4
	v_cmp_le_u32_e32 vcc, v6, v5
	; wave barrier
	ds_write_b32 v0, v1
	; wave barrier
	s_and_saveexec_b64 s[0:1], vcc
	s_cbranch_execz .LBB205_6
; %bb.5:
	ds_read_b32 v6, v0 offset:16
	s_waitcnt lgkmcnt(0)
	v_add_u32_e32 v1, v6, v1
.LBB205_6:
	s_or_b64 exec, exec, s[0:1]
	s_load_dwordx2 s[0:1], s[4:5], 0x10
	v_add_u32_e32 v6, 8, v4
	v_cmp_le_u32_e32 vcc, v6, v5
	; wave barrier
	ds_write_b32 v0, v1
	; wave barrier
	s_and_saveexec_b64 s[2:3], vcc
	s_cbranch_execz .LBB205_8
; %bb.7:
	ds_read_b32 v6, v0 offset:32
	s_waitcnt lgkmcnt(0)
	v_add_u32_e32 v1, v6, v1
.LBB205_8:
	s_or_b64 exec, exec, s[2:3]
	v_add_u32_e32 v6, 16, v4
	v_cmp_le_u32_e32 vcc, v6, v5
	; wave barrier
	ds_write_b32 v0, v1
	; wave barrier
	s_and_saveexec_b64 s[2:3], vcc
	s_cbranch_execz .LBB205_10
; %bb.9:
	ds_read_b32 v6, v0 offset:64
	s_waitcnt lgkmcnt(0)
	v_add_u32_e32 v1, v6, v1
.LBB205_10:
	s_or_b64 exec, exec, s[2:3]
	;; [unrolled: 13-line block ×3, first 2 shown]
	s_waitcnt lgkmcnt(0)
	v_mov_b32_e32 v0, s1
	v_add_co_u32_e32 v2, vcc, s0, v2
	v_addc_co_u32_e32 v3, vcc, v0, v3, vcc
	; wave barrier
	global_store_dword v[2:3], v1, off
	s_endpgm
	.section	.rodata,"a",@progbits
	.p2align	6, 0x0
	.amdhsa_kernel _Z33tail_segmented_warp_reduce_kernelIihLj37ELj37EENSt9enable_ifIXsr10test_utilsE35device_test_enabled_for_warp_size_vIXT2_EEEvE4typeEPT_PT0_S4_
		.amdhsa_group_segment_fixed_size 148
		.amdhsa_private_segment_fixed_size 0
		.amdhsa_kernarg_size 280
		.amdhsa_user_sgpr_count 6
		.amdhsa_user_sgpr_private_segment_buffer 1
		.amdhsa_user_sgpr_dispatch_ptr 0
		.amdhsa_user_sgpr_queue_ptr 0
		.amdhsa_user_sgpr_kernarg_segment_ptr 1
		.amdhsa_user_sgpr_dispatch_id 0
		.amdhsa_user_sgpr_flat_scratch_init 0
		.amdhsa_user_sgpr_kernarg_preload_length 0
		.amdhsa_user_sgpr_kernarg_preload_offset 0
		.amdhsa_user_sgpr_private_segment_size 0
		.amdhsa_uses_dynamic_stack 0
		.amdhsa_system_sgpr_private_segment_wavefront_offset 0
		.amdhsa_system_sgpr_workgroup_id_x 1
		.amdhsa_system_sgpr_workgroup_id_y 0
		.amdhsa_system_sgpr_workgroup_id_z 0
		.amdhsa_system_sgpr_workgroup_info 0
		.amdhsa_system_vgpr_workitem_id 0
		.amdhsa_next_free_vgpr 10
		.amdhsa_next_free_sgpr 8
		.amdhsa_accum_offset 12
		.amdhsa_reserve_vcc 1
		.amdhsa_reserve_flat_scratch 0
		.amdhsa_float_round_mode_32 0
		.amdhsa_float_round_mode_16_64 0
		.amdhsa_float_denorm_mode_32 3
		.amdhsa_float_denorm_mode_16_64 3
		.amdhsa_dx10_clamp 1
		.amdhsa_ieee_mode 1
		.amdhsa_fp16_overflow 0
		.amdhsa_tg_split 0
		.amdhsa_exception_fp_ieee_invalid_op 0
		.amdhsa_exception_fp_denorm_src 0
		.amdhsa_exception_fp_ieee_div_zero 0
		.amdhsa_exception_fp_ieee_overflow 0
		.amdhsa_exception_fp_ieee_underflow 0
		.amdhsa_exception_fp_ieee_inexact 0
		.amdhsa_exception_int_div_zero 0
	.end_amdhsa_kernel
	.section	.text._Z33tail_segmented_warp_reduce_kernelIihLj37ELj37EENSt9enable_ifIXsr10test_utilsE35device_test_enabled_for_warp_size_vIXT2_EEEvE4typeEPT_PT0_S4_,"axG",@progbits,_Z33tail_segmented_warp_reduce_kernelIihLj37ELj37EENSt9enable_ifIXsr10test_utilsE35device_test_enabled_for_warp_size_vIXT2_EEEvE4typeEPT_PT0_S4_,comdat
.Lfunc_end205:
	.size	_Z33tail_segmented_warp_reduce_kernelIihLj37ELj37EENSt9enable_ifIXsr10test_utilsE35device_test_enabled_for_warp_size_vIXT2_EEEvE4typeEPT_PT0_S4_, .Lfunc_end205-_Z33tail_segmented_warp_reduce_kernelIihLj37ELj37EENSt9enable_ifIXsr10test_utilsE35device_test_enabled_for_warp_size_vIXT2_EEEvE4typeEPT_PT0_S4_
                                        ; -- End function
	.section	.AMDGPU.csdata,"",@progbits
; Kernel info:
; codeLenInByte = 496
; NumSgprs: 12
; NumVgprs: 10
; NumAgprs: 0
; TotalNumVgprs: 10
; ScratchSize: 0
; MemoryBound: 0
; FloatMode: 240
; IeeeMode: 1
; LDSByteSize: 148 bytes/workgroup (compile time only)
; SGPRBlocks: 1
; VGPRBlocks: 1
; NumSGPRsForWavesPerEU: 12
; NumVGPRsForWavesPerEU: 10
; AccumOffset: 12
; Occupancy: 8
; WaveLimiterHint : 0
; COMPUTE_PGM_RSRC2:SCRATCH_EN: 0
; COMPUTE_PGM_RSRC2:USER_SGPR: 6
; COMPUTE_PGM_RSRC2:TRAP_HANDLER: 0
; COMPUTE_PGM_RSRC2:TGID_X_EN: 1
; COMPUTE_PGM_RSRC2:TGID_Y_EN: 0
; COMPUTE_PGM_RSRC2:TGID_Z_EN: 0
; COMPUTE_PGM_RSRC2:TIDIG_COMP_CNT: 0
; COMPUTE_PGM_RSRC3_GFX90A:ACCUM_OFFSET: 2
; COMPUTE_PGM_RSRC3_GFX90A:TG_SPLIT: 0
	.section	.text._Z33tail_segmented_warp_reduce_kernelIihLj30ELj15EENSt9enable_ifIXsr10test_utilsE35device_test_enabled_for_warp_size_vIXT2_EEEvE4typeEPT_PT0_S4_,"axG",@progbits,_Z33tail_segmented_warp_reduce_kernelIihLj30ELj15EENSt9enable_ifIXsr10test_utilsE35device_test_enabled_for_warp_size_vIXT2_EEEvE4typeEPT_PT0_S4_,comdat
	.protected	_Z33tail_segmented_warp_reduce_kernelIihLj30ELj15EENSt9enable_ifIXsr10test_utilsE35device_test_enabled_for_warp_size_vIXT2_EEEvE4typeEPT_PT0_S4_ ; -- Begin function _Z33tail_segmented_warp_reduce_kernelIihLj30ELj15EENSt9enable_ifIXsr10test_utilsE35device_test_enabled_for_warp_size_vIXT2_EEEvE4typeEPT_PT0_S4_
	.globl	_Z33tail_segmented_warp_reduce_kernelIihLj30ELj15EENSt9enable_ifIXsr10test_utilsE35device_test_enabled_for_warp_size_vIXT2_EEEvE4typeEPT_PT0_S4_
	.p2align	8
	.type	_Z33tail_segmented_warp_reduce_kernelIihLj30ELj15EENSt9enable_ifIXsr10test_utilsE35device_test_enabled_for_warp_size_vIXT2_EEEvE4typeEPT_PT0_S4_,@function
_Z33tail_segmented_warp_reduce_kernelIihLj30ELj15EENSt9enable_ifIXsr10test_utilsE35device_test_enabled_for_warp_size_vIXT2_EEEvE4typeEPT_PT0_S4_: ; @_Z33tail_segmented_warp_reduce_kernelIihLj30ELj15EENSt9enable_ifIXsr10test_utilsE35device_test_enabled_for_warp_size_vIXT2_EEEvE4typeEPT_PT0_S4_
; %bb.0:
	s_load_dword s7, s[4:5], 0x24
	s_load_dwordx4 s[0:3], s[4:5], 0x0
	v_mov_b32_e32 v5, 0
	s_waitcnt lgkmcnt(0)
	s_and_b32 s7, s7, 0xffff
	s_mul_i32 s6, s6, s7
	v_add_u32_e32 v4, s6, v0
	global_load_ubyte v8, v4, s[2:3]
	v_lshlrev_b64 v[2:3], 2, v[4:5]
	v_mov_b32_e32 v1, s1
	v_add_co_u32_e32 v4, vcc, s0, v2
	v_addc_co_u32_e32 v5, vcc, v1, v3, vcc
	global_load_dword v1, v[4:5], off
	v_mbcnt_lo_u32_b32 v4, -1, 0
	s_mov_b32 s0, 0x11111112
	v_mul_u32_u24_e32 v0, 0x1112, v0
	v_mbcnt_hi_u32_b32 v4, -1, v4
	v_lshrrev_b32_e32 v5, 16, v0
	v_mul_hi_u32 v0, v4, s0
	v_lshlrev_b64 v[6:7], v4, -1
	v_mul_u32_u24_e32 v9, 15, v0
	v_sub_u32_e32 v0, v4, v9
	v_lshlrev_b32_e32 v4, 2, v0
	v_mad_u32_u24 v4, v5, 60, v4
	s_waitcnt vmcnt(1)
	v_cmp_ne_u16_e32 vcc, 0, v8
	v_and_b32_e32 v7, vcc_hi, v7
	v_and_b32_e32 v6, vcc_lo, v6
	v_lshrrev_b64 v[6:7], v9, v[6:7]
	v_or_b32_e32 v5, 0x4000, v6
	v_ffbl_b32_e32 v6, v7
	v_add_u32_e32 v6, 32, v6
	v_ffbl_b32_e32 v5, v5
	v_min_u32_e32 v5, v5, v6
	v_cmp_lt_u32_e32 vcc, v0, v5
	s_waitcnt vmcnt(0)
	ds_write_b32 v4, v1
	; wave barrier
	s_and_saveexec_b64 s[0:1], vcc
	s_cbranch_execz .LBB206_2
; %bb.1:
	ds_read_b32 v6, v4 offset:4
	s_waitcnt lgkmcnt(0)
	v_add_u32_e32 v1, v6, v1
.LBB206_2:
	s_or_b64 exec, exec, s[0:1]
	s_load_dwordx2 s[0:1], s[4:5], 0x10
	v_add_u32_e32 v6, 2, v0
	v_cmp_le_u32_e32 vcc, v6, v5
	; wave barrier
	ds_write_b32 v4, v1
	; wave barrier
	s_and_saveexec_b64 s[2:3], vcc
	s_cbranch_execz .LBB206_4
; %bb.3:
	ds_read_b32 v6, v4 offset:8
	s_waitcnt lgkmcnt(0)
	v_add_u32_e32 v1, v6, v1
.LBB206_4:
	s_or_b64 exec, exec, s[2:3]
	v_add_u32_e32 v6, 4, v0
	v_cmp_le_u32_e32 vcc, v6, v5
	; wave barrier
	ds_write_b32 v4, v1
	; wave barrier
	s_and_saveexec_b64 s[2:3], vcc
	s_cbranch_execz .LBB206_6
; %bb.5:
	ds_read_b32 v6, v4 offset:16
	s_waitcnt lgkmcnt(0)
	v_add_u32_e32 v1, v6, v1
.LBB206_6:
	s_or_b64 exec, exec, s[2:3]
	;; [unrolled: 13-line block ×3, first 2 shown]
	s_waitcnt lgkmcnt(0)
	v_mov_b32_e32 v0, s1
	v_add_co_u32_e32 v2, vcc, s0, v2
	v_addc_co_u32_e32 v3, vcc, v0, v3, vcc
	; wave barrier
	global_store_dword v[2:3], v1, off
	s_endpgm
	.section	.rodata,"a",@progbits
	.p2align	6, 0x0
	.amdhsa_kernel _Z33tail_segmented_warp_reduce_kernelIihLj30ELj15EENSt9enable_ifIXsr10test_utilsE35device_test_enabled_for_warp_size_vIXT2_EEEvE4typeEPT_PT0_S4_
		.amdhsa_group_segment_fixed_size 120
		.amdhsa_private_segment_fixed_size 0
		.amdhsa_kernarg_size 280
		.amdhsa_user_sgpr_count 6
		.amdhsa_user_sgpr_private_segment_buffer 1
		.amdhsa_user_sgpr_dispatch_ptr 0
		.amdhsa_user_sgpr_queue_ptr 0
		.amdhsa_user_sgpr_kernarg_segment_ptr 1
		.amdhsa_user_sgpr_dispatch_id 0
		.amdhsa_user_sgpr_flat_scratch_init 0
		.amdhsa_user_sgpr_kernarg_preload_length 0
		.amdhsa_user_sgpr_kernarg_preload_offset 0
		.amdhsa_user_sgpr_private_segment_size 0
		.amdhsa_uses_dynamic_stack 0
		.amdhsa_system_sgpr_private_segment_wavefront_offset 0
		.amdhsa_system_sgpr_workgroup_id_x 1
		.amdhsa_system_sgpr_workgroup_id_y 0
		.amdhsa_system_sgpr_workgroup_id_z 0
		.amdhsa_system_sgpr_workgroup_info 0
		.amdhsa_system_vgpr_workitem_id 0
		.amdhsa_next_free_vgpr 10
		.amdhsa_next_free_sgpr 8
		.amdhsa_accum_offset 12
		.amdhsa_reserve_vcc 1
		.amdhsa_reserve_flat_scratch 0
		.amdhsa_float_round_mode_32 0
		.amdhsa_float_round_mode_16_64 0
		.amdhsa_float_denorm_mode_32 3
		.amdhsa_float_denorm_mode_16_64 3
		.amdhsa_dx10_clamp 1
		.amdhsa_ieee_mode 1
		.amdhsa_fp16_overflow 0
		.amdhsa_tg_split 0
		.amdhsa_exception_fp_ieee_invalid_op 0
		.amdhsa_exception_fp_denorm_src 0
		.amdhsa_exception_fp_ieee_div_zero 0
		.amdhsa_exception_fp_ieee_overflow 0
		.amdhsa_exception_fp_ieee_underflow 0
		.amdhsa_exception_fp_ieee_inexact 0
		.amdhsa_exception_int_div_zero 0
	.end_amdhsa_kernel
	.section	.text._Z33tail_segmented_warp_reduce_kernelIihLj30ELj15EENSt9enable_ifIXsr10test_utilsE35device_test_enabled_for_warp_size_vIXT2_EEEvE4typeEPT_PT0_S4_,"axG",@progbits,_Z33tail_segmented_warp_reduce_kernelIihLj30ELj15EENSt9enable_ifIXsr10test_utilsE35device_test_enabled_for_warp_size_vIXT2_EEEvE4typeEPT_PT0_S4_,comdat
.Lfunc_end206:
	.size	_Z33tail_segmented_warp_reduce_kernelIihLj30ELj15EENSt9enable_ifIXsr10test_utilsE35device_test_enabled_for_warp_size_vIXT2_EEEvE4typeEPT_PT0_S4_, .Lfunc_end206-_Z33tail_segmented_warp_reduce_kernelIihLj30ELj15EENSt9enable_ifIXsr10test_utilsE35device_test_enabled_for_warp_size_vIXT2_EEEvE4typeEPT_PT0_S4_
                                        ; -- End function
	.section	.AMDGPU.csdata,"",@progbits
; Kernel info:
; codeLenInByte = 408
; NumSgprs: 12
; NumVgprs: 10
; NumAgprs: 0
; TotalNumVgprs: 10
; ScratchSize: 0
; MemoryBound: 0
; FloatMode: 240
; IeeeMode: 1
; LDSByteSize: 120 bytes/workgroup (compile time only)
; SGPRBlocks: 1
; VGPRBlocks: 1
; NumSGPRsForWavesPerEU: 12
; NumVGPRsForWavesPerEU: 10
; AccumOffset: 12
; Occupancy: 8
; WaveLimiterHint : 0
; COMPUTE_PGM_RSRC2:SCRATCH_EN: 0
; COMPUTE_PGM_RSRC2:USER_SGPR: 6
; COMPUTE_PGM_RSRC2:TRAP_HANDLER: 0
; COMPUTE_PGM_RSRC2:TGID_X_EN: 1
; COMPUTE_PGM_RSRC2:TGID_Y_EN: 0
; COMPUTE_PGM_RSRC2:TGID_Z_EN: 0
; COMPUTE_PGM_RSRC2:TIDIG_COMP_CNT: 0
; COMPUTE_PGM_RSRC3_GFX90A:ACCUM_OFFSET: 2
; COMPUTE_PGM_RSRC3_GFX90A:TG_SPLIT: 0
	.section	.text._Z33tail_segmented_warp_reduce_kernelIihLj60ELj15EENSt9enable_ifIXsr10test_utilsE35device_test_enabled_for_warp_size_vIXT2_EEEvE4typeEPT_PT0_S4_,"axG",@progbits,_Z33tail_segmented_warp_reduce_kernelIihLj60ELj15EENSt9enable_ifIXsr10test_utilsE35device_test_enabled_for_warp_size_vIXT2_EEEvE4typeEPT_PT0_S4_,comdat
	.protected	_Z33tail_segmented_warp_reduce_kernelIihLj60ELj15EENSt9enable_ifIXsr10test_utilsE35device_test_enabled_for_warp_size_vIXT2_EEEvE4typeEPT_PT0_S4_ ; -- Begin function _Z33tail_segmented_warp_reduce_kernelIihLj60ELj15EENSt9enable_ifIXsr10test_utilsE35device_test_enabled_for_warp_size_vIXT2_EEEvE4typeEPT_PT0_S4_
	.globl	_Z33tail_segmented_warp_reduce_kernelIihLj60ELj15EENSt9enable_ifIXsr10test_utilsE35device_test_enabled_for_warp_size_vIXT2_EEEvE4typeEPT_PT0_S4_
	.p2align	8
	.type	_Z33tail_segmented_warp_reduce_kernelIihLj60ELj15EENSt9enable_ifIXsr10test_utilsE35device_test_enabled_for_warp_size_vIXT2_EEEvE4typeEPT_PT0_S4_,@function
_Z33tail_segmented_warp_reduce_kernelIihLj60ELj15EENSt9enable_ifIXsr10test_utilsE35device_test_enabled_for_warp_size_vIXT2_EEEvE4typeEPT_PT0_S4_: ; @_Z33tail_segmented_warp_reduce_kernelIihLj60ELj15EENSt9enable_ifIXsr10test_utilsE35device_test_enabled_for_warp_size_vIXT2_EEEvE4typeEPT_PT0_S4_
; %bb.0:
	s_load_dword s7, s[4:5], 0x24
	s_load_dwordx4 s[0:3], s[4:5], 0x0
	v_mov_b32_e32 v5, 0
	s_waitcnt lgkmcnt(0)
	s_and_b32 s7, s7, 0xffff
	s_mul_i32 s6, s6, s7
	v_add_u32_e32 v4, s6, v0
	global_load_ubyte v8, v4, s[2:3]
	v_lshlrev_b64 v[2:3], 2, v[4:5]
	v_mov_b32_e32 v1, s1
	v_add_co_u32_e32 v4, vcc, s0, v2
	v_addc_co_u32_e32 v5, vcc, v1, v3, vcc
	global_load_dword v1, v[4:5], off
	v_mbcnt_lo_u32_b32 v4, -1, 0
	s_mov_b32 s0, 0x11111112
	v_mul_u32_u24_e32 v0, 0x1112, v0
	v_mbcnt_hi_u32_b32 v4, -1, v4
	v_lshrrev_b32_e32 v5, 16, v0
	v_mul_hi_u32 v0, v4, s0
	v_lshlrev_b64 v[6:7], v4, -1
	v_mul_u32_u24_e32 v9, 15, v0
	v_sub_u32_e32 v0, v4, v9
	v_lshlrev_b32_e32 v4, 2, v0
	v_mad_u32_u24 v4, v5, 60, v4
	s_waitcnt vmcnt(1)
	v_cmp_ne_u16_e32 vcc, 0, v8
	v_and_b32_e32 v7, vcc_hi, v7
	v_and_b32_e32 v6, vcc_lo, v6
	v_lshrrev_b64 v[6:7], v9, v[6:7]
	v_or_b32_e32 v5, 0x4000, v6
	v_ffbl_b32_e32 v6, v7
	v_add_u32_e32 v6, 32, v6
	v_ffbl_b32_e32 v5, v5
	v_min_u32_e32 v5, v5, v6
	v_cmp_lt_u32_e32 vcc, v0, v5
	s_waitcnt vmcnt(0)
	ds_write_b32 v4, v1
	; wave barrier
	s_and_saveexec_b64 s[0:1], vcc
	s_cbranch_execz .LBB207_2
; %bb.1:
	ds_read_b32 v6, v4 offset:4
	s_waitcnt lgkmcnt(0)
	v_add_u32_e32 v1, v6, v1
.LBB207_2:
	s_or_b64 exec, exec, s[0:1]
	s_load_dwordx2 s[0:1], s[4:5], 0x10
	v_add_u32_e32 v6, 2, v0
	v_cmp_le_u32_e32 vcc, v6, v5
	; wave barrier
	ds_write_b32 v4, v1
	; wave barrier
	s_and_saveexec_b64 s[2:3], vcc
	s_cbranch_execz .LBB207_4
; %bb.3:
	ds_read_b32 v6, v4 offset:8
	s_waitcnt lgkmcnt(0)
	v_add_u32_e32 v1, v6, v1
.LBB207_4:
	s_or_b64 exec, exec, s[2:3]
	v_add_u32_e32 v6, 4, v0
	v_cmp_le_u32_e32 vcc, v6, v5
	; wave barrier
	ds_write_b32 v4, v1
	; wave barrier
	s_and_saveexec_b64 s[2:3], vcc
	s_cbranch_execz .LBB207_6
; %bb.5:
	ds_read_b32 v6, v4 offset:16
	s_waitcnt lgkmcnt(0)
	v_add_u32_e32 v1, v6, v1
.LBB207_6:
	s_or_b64 exec, exec, s[2:3]
	;; [unrolled: 13-line block ×3, first 2 shown]
	s_waitcnt lgkmcnt(0)
	v_mov_b32_e32 v0, s1
	v_add_co_u32_e32 v2, vcc, s0, v2
	v_addc_co_u32_e32 v3, vcc, v0, v3, vcc
	; wave barrier
	global_store_dword v[2:3], v1, off
	s_endpgm
	.section	.rodata,"a",@progbits
	.p2align	6, 0x0
	.amdhsa_kernel _Z33tail_segmented_warp_reduce_kernelIihLj60ELj15EENSt9enable_ifIXsr10test_utilsE35device_test_enabled_for_warp_size_vIXT2_EEEvE4typeEPT_PT0_S4_
		.amdhsa_group_segment_fixed_size 240
		.amdhsa_private_segment_fixed_size 0
		.amdhsa_kernarg_size 280
		.amdhsa_user_sgpr_count 6
		.amdhsa_user_sgpr_private_segment_buffer 1
		.amdhsa_user_sgpr_dispatch_ptr 0
		.amdhsa_user_sgpr_queue_ptr 0
		.amdhsa_user_sgpr_kernarg_segment_ptr 1
		.amdhsa_user_sgpr_dispatch_id 0
		.amdhsa_user_sgpr_flat_scratch_init 0
		.amdhsa_user_sgpr_kernarg_preload_length 0
		.amdhsa_user_sgpr_kernarg_preload_offset 0
		.amdhsa_user_sgpr_private_segment_size 0
		.amdhsa_uses_dynamic_stack 0
		.amdhsa_system_sgpr_private_segment_wavefront_offset 0
		.amdhsa_system_sgpr_workgroup_id_x 1
		.amdhsa_system_sgpr_workgroup_id_y 0
		.amdhsa_system_sgpr_workgroup_id_z 0
		.amdhsa_system_sgpr_workgroup_info 0
		.amdhsa_system_vgpr_workitem_id 0
		.amdhsa_next_free_vgpr 10
		.amdhsa_next_free_sgpr 8
		.amdhsa_accum_offset 12
		.amdhsa_reserve_vcc 1
		.amdhsa_reserve_flat_scratch 0
		.amdhsa_float_round_mode_32 0
		.amdhsa_float_round_mode_16_64 0
		.amdhsa_float_denorm_mode_32 3
		.amdhsa_float_denorm_mode_16_64 3
		.amdhsa_dx10_clamp 1
		.amdhsa_ieee_mode 1
		.amdhsa_fp16_overflow 0
		.amdhsa_tg_split 0
		.amdhsa_exception_fp_ieee_invalid_op 0
		.amdhsa_exception_fp_denorm_src 0
		.amdhsa_exception_fp_ieee_div_zero 0
		.amdhsa_exception_fp_ieee_overflow 0
		.amdhsa_exception_fp_ieee_underflow 0
		.amdhsa_exception_fp_ieee_inexact 0
		.amdhsa_exception_int_div_zero 0
	.end_amdhsa_kernel
	.section	.text._Z33tail_segmented_warp_reduce_kernelIihLj60ELj15EENSt9enable_ifIXsr10test_utilsE35device_test_enabled_for_warp_size_vIXT2_EEEvE4typeEPT_PT0_S4_,"axG",@progbits,_Z33tail_segmented_warp_reduce_kernelIihLj60ELj15EENSt9enable_ifIXsr10test_utilsE35device_test_enabled_for_warp_size_vIXT2_EEEvE4typeEPT_PT0_S4_,comdat
.Lfunc_end207:
	.size	_Z33tail_segmented_warp_reduce_kernelIihLj60ELj15EENSt9enable_ifIXsr10test_utilsE35device_test_enabled_for_warp_size_vIXT2_EEEvE4typeEPT_PT0_S4_, .Lfunc_end207-_Z33tail_segmented_warp_reduce_kernelIihLj60ELj15EENSt9enable_ifIXsr10test_utilsE35device_test_enabled_for_warp_size_vIXT2_EEEvE4typeEPT_PT0_S4_
                                        ; -- End function
	.section	.AMDGPU.csdata,"",@progbits
; Kernel info:
; codeLenInByte = 408
; NumSgprs: 12
; NumVgprs: 10
; NumAgprs: 0
; TotalNumVgprs: 10
; ScratchSize: 0
; MemoryBound: 0
; FloatMode: 240
; IeeeMode: 1
; LDSByteSize: 240 bytes/workgroup (compile time only)
; SGPRBlocks: 1
; VGPRBlocks: 1
; NumSGPRsForWavesPerEU: 12
; NumVGPRsForWavesPerEU: 10
; AccumOffset: 12
; Occupancy: 8
; WaveLimiterHint : 0
; COMPUTE_PGM_RSRC2:SCRATCH_EN: 0
; COMPUTE_PGM_RSRC2:USER_SGPR: 6
; COMPUTE_PGM_RSRC2:TRAP_HANDLER: 0
; COMPUTE_PGM_RSRC2:TGID_X_EN: 1
; COMPUTE_PGM_RSRC2:TGID_Y_EN: 0
; COMPUTE_PGM_RSRC2:TGID_Z_EN: 0
; COMPUTE_PGM_RSRC2:TIDIG_COMP_CNT: 0
; COMPUTE_PGM_RSRC3_GFX90A:ACCUM_OFFSET: 2
; COMPUTE_PGM_RSRC3_GFX90A:TG_SPLIT: 0
	.section	.text._Z33tail_segmented_warp_reduce_kernelIihLj28ELj7EENSt9enable_ifIXsr10test_utilsE35device_test_enabled_for_warp_size_vIXT2_EEEvE4typeEPT_PT0_S4_,"axG",@progbits,_Z33tail_segmented_warp_reduce_kernelIihLj28ELj7EENSt9enable_ifIXsr10test_utilsE35device_test_enabled_for_warp_size_vIXT2_EEEvE4typeEPT_PT0_S4_,comdat
	.protected	_Z33tail_segmented_warp_reduce_kernelIihLj28ELj7EENSt9enable_ifIXsr10test_utilsE35device_test_enabled_for_warp_size_vIXT2_EEEvE4typeEPT_PT0_S4_ ; -- Begin function _Z33tail_segmented_warp_reduce_kernelIihLj28ELj7EENSt9enable_ifIXsr10test_utilsE35device_test_enabled_for_warp_size_vIXT2_EEEvE4typeEPT_PT0_S4_
	.globl	_Z33tail_segmented_warp_reduce_kernelIihLj28ELj7EENSt9enable_ifIXsr10test_utilsE35device_test_enabled_for_warp_size_vIXT2_EEEvE4typeEPT_PT0_S4_
	.p2align	8
	.type	_Z33tail_segmented_warp_reduce_kernelIihLj28ELj7EENSt9enable_ifIXsr10test_utilsE35device_test_enabled_for_warp_size_vIXT2_EEEvE4typeEPT_PT0_S4_,@function
_Z33tail_segmented_warp_reduce_kernelIihLj28ELj7EENSt9enable_ifIXsr10test_utilsE35device_test_enabled_for_warp_size_vIXT2_EEEvE4typeEPT_PT0_S4_: ; @_Z33tail_segmented_warp_reduce_kernelIihLj28ELj7EENSt9enable_ifIXsr10test_utilsE35device_test_enabled_for_warp_size_vIXT2_EEEvE4typeEPT_PT0_S4_
; %bb.0:
	s_load_dword s2, s[4:5], 0x24
	s_load_dwordx4 s[8:11], s[4:5], 0x0
	s_load_dwordx2 s[0:1], s[4:5], 0x10
	v_mov_b32_e32 v5, 0
	s_waitcnt lgkmcnt(0)
	s_and_b32 s2, s2, 0xffff
	s_mul_i32 s6, s6, s2
	v_add_u32_e32 v4, s6, v0
	global_load_ubyte v8, v4, s[10:11]
	v_lshlrev_b64 v[2:3], 2, v[4:5]
	v_mov_b32_e32 v1, s9
	v_add_co_u32_e32 v4, vcc, s8, v2
	v_addc_co_u32_e32 v5, vcc, v1, v3, vcc
	global_load_dword v1, v[4:5], off
	v_mbcnt_lo_u32_b32 v4, -1, 0
	s_mov_b32 s2, 0x24924925
	v_mul_u32_u24_e32 v0, 0x2493, v0
	v_mbcnt_hi_u32_b32 v4, -1, v4
	v_lshrrev_b32_e32 v5, 16, v0
	v_mul_hi_u32 v0, v4, s2
	v_lshlrev_b64 v[6:7], v4, -1
	v_mul_u32_u24_e32 v9, 7, v0
	v_sub_u32_e32 v0, v4, v9
	v_lshlrev_b32_e32 v4, 2, v0
	v_mad_u32_u24 v4, v5, 28, v4
	s_waitcnt vmcnt(1)
	v_cmp_ne_u16_e32 vcc, 0, v8
	v_and_b32_e32 v7, vcc_hi, v7
	v_and_b32_e32 v6, vcc_lo, v6
	v_lshrrev_b64 v[6:7], v9, v[6:7]
	v_or_b32_e32 v5, 64, v6
	v_ffbl_b32_e32 v6, v7
	v_add_u32_e32 v6, 32, v6
	v_ffbl_b32_e32 v5, v5
	v_min_u32_e32 v5, v5, v6
	v_cmp_lt_u32_e32 vcc, v0, v5
	s_waitcnt vmcnt(0)
	ds_write_b32 v4, v1
	; wave barrier
	s_and_saveexec_b64 s[2:3], vcc
	s_cbranch_execz .LBB208_2
; %bb.1:
	ds_read_b32 v6, v4 offset:4
	s_waitcnt lgkmcnt(0)
	v_add_u32_e32 v1, v6, v1
.LBB208_2:
	s_or_b64 exec, exec, s[2:3]
	v_add_u32_e32 v6, 2, v0
	v_cmp_le_u32_e32 vcc, v6, v5
	; wave barrier
	ds_write_b32 v4, v1
	; wave barrier
	s_and_saveexec_b64 s[2:3], vcc
	s_cbranch_execz .LBB208_4
; %bb.3:
	ds_read_b32 v6, v4 offset:8
	s_waitcnt lgkmcnt(0)
	v_add_u32_e32 v1, v6, v1
.LBB208_4:
	s_or_b64 exec, exec, s[2:3]
	v_add_u32_e32 v0, 4, v0
	v_cmp_le_u32_e32 vcc, v0, v5
	; wave barrier
	ds_write_b32 v4, v1
	; wave barrier
	s_and_saveexec_b64 s[2:3], vcc
	s_cbranch_execz .LBB208_6
; %bb.5:
	ds_read_b32 v0, v4 offset:16
	s_waitcnt lgkmcnt(0)
	v_add_u32_e32 v1, v0, v1
.LBB208_6:
	s_or_b64 exec, exec, s[2:3]
	v_mov_b32_e32 v0, s1
	v_add_co_u32_e32 v2, vcc, s0, v2
	v_addc_co_u32_e32 v3, vcc, v0, v3, vcc
	; wave barrier
	global_store_dword v[2:3], v1, off
	s_endpgm
	.section	.rodata,"a",@progbits
	.p2align	6, 0x0
	.amdhsa_kernel _Z33tail_segmented_warp_reduce_kernelIihLj28ELj7EENSt9enable_ifIXsr10test_utilsE35device_test_enabled_for_warp_size_vIXT2_EEEvE4typeEPT_PT0_S4_
		.amdhsa_group_segment_fixed_size 112
		.amdhsa_private_segment_fixed_size 0
		.amdhsa_kernarg_size 280
		.amdhsa_user_sgpr_count 6
		.amdhsa_user_sgpr_private_segment_buffer 1
		.amdhsa_user_sgpr_dispatch_ptr 0
		.amdhsa_user_sgpr_queue_ptr 0
		.amdhsa_user_sgpr_kernarg_segment_ptr 1
		.amdhsa_user_sgpr_dispatch_id 0
		.amdhsa_user_sgpr_flat_scratch_init 0
		.amdhsa_user_sgpr_kernarg_preload_length 0
		.amdhsa_user_sgpr_kernarg_preload_offset 0
		.amdhsa_user_sgpr_private_segment_size 0
		.amdhsa_uses_dynamic_stack 0
		.amdhsa_system_sgpr_private_segment_wavefront_offset 0
		.amdhsa_system_sgpr_workgroup_id_x 1
		.amdhsa_system_sgpr_workgroup_id_y 0
		.amdhsa_system_sgpr_workgroup_id_z 0
		.amdhsa_system_sgpr_workgroup_info 0
		.amdhsa_system_vgpr_workitem_id 0
		.amdhsa_next_free_vgpr 10
		.amdhsa_next_free_sgpr 12
		.amdhsa_accum_offset 12
		.amdhsa_reserve_vcc 1
		.amdhsa_reserve_flat_scratch 0
		.amdhsa_float_round_mode_32 0
		.amdhsa_float_round_mode_16_64 0
		.amdhsa_float_denorm_mode_32 3
		.amdhsa_float_denorm_mode_16_64 3
		.amdhsa_dx10_clamp 1
		.amdhsa_ieee_mode 1
		.amdhsa_fp16_overflow 0
		.amdhsa_tg_split 0
		.amdhsa_exception_fp_ieee_invalid_op 0
		.amdhsa_exception_fp_denorm_src 0
		.amdhsa_exception_fp_ieee_div_zero 0
		.amdhsa_exception_fp_ieee_overflow 0
		.amdhsa_exception_fp_ieee_underflow 0
		.amdhsa_exception_fp_ieee_inexact 0
		.amdhsa_exception_int_div_zero 0
	.end_amdhsa_kernel
	.section	.text._Z33tail_segmented_warp_reduce_kernelIihLj28ELj7EENSt9enable_ifIXsr10test_utilsE35device_test_enabled_for_warp_size_vIXT2_EEEvE4typeEPT_PT0_S4_,"axG",@progbits,_Z33tail_segmented_warp_reduce_kernelIihLj28ELj7EENSt9enable_ifIXsr10test_utilsE35device_test_enabled_for_warp_size_vIXT2_EEEvE4typeEPT_PT0_S4_,comdat
.Lfunc_end208:
	.size	_Z33tail_segmented_warp_reduce_kernelIihLj28ELj7EENSt9enable_ifIXsr10test_utilsE35device_test_enabled_for_warp_size_vIXT2_EEEvE4typeEPT_PT0_S4_, .Lfunc_end208-_Z33tail_segmented_warp_reduce_kernelIihLj28ELj7EENSt9enable_ifIXsr10test_utilsE35device_test_enabled_for_warp_size_vIXT2_EEEvE4typeEPT_PT0_S4_
                                        ; -- End function
	.section	.AMDGPU.csdata,"",@progbits
; Kernel info:
; codeLenInByte = 356
; NumSgprs: 16
; NumVgprs: 10
; NumAgprs: 0
; TotalNumVgprs: 10
; ScratchSize: 0
; MemoryBound: 0
; FloatMode: 240
; IeeeMode: 1
; LDSByteSize: 112 bytes/workgroup (compile time only)
; SGPRBlocks: 1
; VGPRBlocks: 1
; NumSGPRsForWavesPerEU: 16
; NumVGPRsForWavesPerEU: 10
; AccumOffset: 12
; Occupancy: 8
; WaveLimiterHint : 0
; COMPUTE_PGM_RSRC2:SCRATCH_EN: 0
; COMPUTE_PGM_RSRC2:USER_SGPR: 6
; COMPUTE_PGM_RSRC2:TRAP_HANDLER: 0
; COMPUTE_PGM_RSRC2:TGID_X_EN: 1
; COMPUTE_PGM_RSRC2:TGID_Y_EN: 0
; COMPUTE_PGM_RSRC2:TGID_Z_EN: 0
; COMPUTE_PGM_RSRC2:TIDIG_COMP_CNT: 0
; COMPUTE_PGM_RSRC3_GFX90A:ACCUM_OFFSET: 2
; COMPUTE_PGM_RSRC3_GFX90A:TG_SPLIT: 0
	.section	.text._Z33tail_segmented_warp_reduce_kernelIihLj63ELj7EENSt9enable_ifIXsr10test_utilsE35device_test_enabled_for_warp_size_vIXT2_EEEvE4typeEPT_PT0_S4_,"axG",@progbits,_Z33tail_segmented_warp_reduce_kernelIihLj63ELj7EENSt9enable_ifIXsr10test_utilsE35device_test_enabled_for_warp_size_vIXT2_EEEvE4typeEPT_PT0_S4_,comdat
	.protected	_Z33tail_segmented_warp_reduce_kernelIihLj63ELj7EENSt9enable_ifIXsr10test_utilsE35device_test_enabled_for_warp_size_vIXT2_EEEvE4typeEPT_PT0_S4_ ; -- Begin function _Z33tail_segmented_warp_reduce_kernelIihLj63ELj7EENSt9enable_ifIXsr10test_utilsE35device_test_enabled_for_warp_size_vIXT2_EEEvE4typeEPT_PT0_S4_
	.globl	_Z33tail_segmented_warp_reduce_kernelIihLj63ELj7EENSt9enable_ifIXsr10test_utilsE35device_test_enabled_for_warp_size_vIXT2_EEEvE4typeEPT_PT0_S4_
	.p2align	8
	.type	_Z33tail_segmented_warp_reduce_kernelIihLj63ELj7EENSt9enable_ifIXsr10test_utilsE35device_test_enabled_for_warp_size_vIXT2_EEEvE4typeEPT_PT0_S4_,@function
_Z33tail_segmented_warp_reduce_kernelIihLj63ELj7EENSt9enable_ifIXsr10test_utilsE35device_test_enabled_for_warp_size_vIXT2_EEEvE4typeEPT_PT0_S4_: ; @_Z33tail_segmented_warp_reduce_kernelIihLj63ELj7EENSt9enable_ifIXsr10test_utilsE35device_test_enabled_for_warp_size_vIXT2_EEEvE4typeEPT_PT0_S4_
; %bb.0:
	s_load_dword s2, s[4:5], 0x24
	s_load_dwordx4 s[8:11], s[4:5], 0x0
	s_load_dwordx2 s[0:1], s[4:5], 0x10
	v_mov_b32_e32 v5, 0
	s_waitcnt lgkmcnt(0)
	s_and_b32 s2, s2, 0xffff
	s_mul_i32 s6, s6, s2
	v_add_u32_e32 v4, s6, v0
	global_load_ubyte v8, v4, s[10:11]
	v_lshlrev_b64 v[2:3], 2, v[4:5]
	v_mov_b32_e32 v1, s9
	v_add_co_u32_e32 v4, vcc, s8, v2
	v_addc_co_u32_e32 v5, vcc, v1, v3, vcc
	global_load_dword v1, v[4:5], off
	v_mbcnt_lo_u32_b32 v4, -1, 0
	s_mov_b32 s2, 0x24924925
	v_mul_u32_u24_e32 v0, 0x2493, v0
	v_mbcnt_hi_u32_b32 v4, -1, v4
	v_lshrrev_b32_e32 v5, 16, v0
	v_mul_hi_u32 v0, v4, s2
	v_lshlrev_b64 v[6:7], v4, -1
	v_mul_u32_u24_e32 v9, 7, v0
	v_sub_u32_e32 v0, v4, v9
	v_lshlrev_b32_e32 v4, 2, v0
	v_mad_u32_u24 v4, v5, 28, v4
	s_waitcnt vmcnt(1)
	v_cmp_ne_u16_e32 vcc, 0, v8
	v_and_b32_e32 v7, vcc_hi, v7
	v_and_b32_e32 v6, vcc_lo, v6
	v_lshrrev_b64 v[6:7], v9, v[6:7]
	v_or_b32_e32 v5, 64, v6
	v_ffbl_b32_e32 v6, v7
	v_add_u32_e32 v6, 32, v6
	v_ffbl_b32_e32 v5, v5
	v_min_u32_e32 v5, v5, v6
	v_cmp_lt_u32_e32 vcc, v0, v5
	s_waitcnt vmcnt(0)
	ds_write_b32 v4, v1
	; wave barrier
	s_and_saveexec_b64 s[2:3], vcc
	s_cbranch_execz .LBB209_2
; %bb.1:
	ds_read_b32 v6, v4 offset:4
	s_waitcnt lgkmcnt(0)
	v_add_u32_e32 v1, v6, v1
.LBB209_2:
	s_or_b64 exec, exec, s[2:3]
	v_add_u32_e32 v6, 2, v0
	v_cmp_le_u32_e32 vcc, v6, v5
	; wave barrier
	ds_write_b32 v4, v1
	; wave barrier
	s_and_saveexec_b64 s[2:3], vcc
	s_cbranch_execz .LBB209_4
; %bb.3:
	ds_read_b32 v6, v4 offset:8
	s_waitcnt lgkmcnt(0)
	v_add_u32_e32 v1, v6, v1
.LBB209_4:
	s_or_b64 exec, exec, s[2:3]
	v_add_u32_e32 v0, 4, v0
	v_cmp_le_u32_e32 vcc, v0, v5
	; wave barrier
	ds_write_b32 v4, v1
	; wave barrier
	s_and_saveexec_b64 s[2:3], vcc
	s_cbranch_execz .LBB209_6
; %bb.5:
	ds_read_b32 v0, v4 offset:16
	s_waitcnt lgkmcnt(0)
	v_add_u32_e32 v1, v0, v1
.LBB209_6:
	s_or_b64 exec, exec, s[2:3]
	v_mov_b32_e32 v0, s1
	v_add_co_u32_e32 v2, vcc, s0, v2
	v_addc_co_u32_e32 v3, vcc, v0, v3, vcc
	; wave barrier
	global_store_dword v[2:3], v1, off
	s_endpgm
	.section	.rodata,"a",@progbits
	.p2align	6, 0x0
	.amdhsa_kernel _Z33tail_segmented_warp_reduce_kernelIihLj63ELj7EENSt9enable_ifIXsr10test_utilsE35device_test_enabled_for_warp_size_vIXT2_EEEvE4typeEPT_PT0_S4_
		.amdhsa_group_segment_fixed_size 252
		.amdhsa_private_segment_fixed_size 0
		.amdhsa_kernarg_size 280
		.amdhsa_user_sgpr_count 6
		.amdhsa_user_sgpr_private_segment_buffer 1
		.amdhsa_user_sgpr_dispatch_ptr 0
		.amdhsa_user_sgpr_queue_ptr 0
		.amdhsa_user_sgpr_kernarg_segment_ptr 1
		.amdhsa_user_sgpr_dispatch_id 0
		.amdhsa_user_sgpr_flat_scratch_init 0
		.amdhsa_user_sgpr_kernarg_preload_length 0
		.amdhsa_user_sgpr_kernarg_preload_offset 0
		.amdhsa_user_sgpr_private_segment_size 0
		.amdhsa_uses_dynamic_stack 0
		.amdhsa_system_sgpr_private_segment_wavefront_offset 0
		.amdhsa_system_sgpr_workgroup_id_x 1
		.amdhsa_system_sgpr_workgroup_id_y 0
		.amdhsa_system_sgpr_workgroup_id_z 0
		.amdhsa_system_sgpr_workgroup_info 0
		.amdhsa_system_vgpr_workitem_id 0
		.amdhsa_next_free_vgpr 10
		.amdhsa_next_free_sgpr 12
		.amdhsa_accum_offset 12
		.amdhsa_reserve_vcc 1
		.amdhsa_reserve_flat_scratch 0
		.amdhsa_float_round_mode_32 0
		.amdhsa_float_round_mode_16_64 0
		.amdhsa_float_denorm_mode_32 3
		.amdhsa_float_denorm_mode_16_64 3
		.amdhsa_dx10_clamp 1
		.amdhsa_ieee_mode 1
		.amdhsa_fp16_overflow 0
		.amdhsa_tg_split 0
		.amdhsa_exception_fp_ieee_invalid_op 0
		.amdhsa_exception_fp_denorm_src 0
		.amdhsa_exception_fp_ieee_div_zero 0
		.amdhsa_exception_fp_ieee_overflow 0
		.amdhsa_exception_fp_ieee_underflow 0
		.amdhsa_exception_fp_ieee_inexact 0
		.amdhsa_exception_int_div_zero 0
	.end_amdhsa_kernel
	.section	.text._Z33tail_segmented_warp_reduce_kernelIihLj63ELj7EENSt9enable_ifIXsr10test_utilsE35device_test_enabled_for_warp_size_vIXT2_EEEvE4typeEPT_PT0_S4_,"axG",@progbits,_Z33tail_segmented_warp_reduce_kernelIihLj63ELj7EENSt9enable_ifIXsr10test_utilsE35device_test_enabled_for_warp_size_vIXT2_EEEvE4typeEPT_PT0_S4_,comdat
.Lfunc_end209:
	.size	_Z33tail_segmented_warp_reduce_kernelIihLj63ELj7EENSt9enable_ifIXsr10test_utilsE35device_test_enabled_for_warp_size_vIXT2_EEEvE4typeEPT_PT0_S4_, .Lfunc_end209-_Z33tail_segmented_warp_reduce_kernelIihLj63ELj7EENSt9enable_ifIXsr10test_utilsE35device_test_enabled_for_warp_size_vIXT2_EEEvE4typeEPT_PT0_S4_
                                        ; -- End function
	.section	.AMDGPU.csdata,"",@progbits
; Kernel info:
; codeLenInByte = 356
; NumSgprs: 16
; NumVgprs: 10
; NumAgprs: 0
; TotalNumVgprs: 10
; ScratchSize: 0
; MemoryBound: 0
; FloatMode: 240
; IeeeMode: 1
; LDSByteSize: 252 bytes/workgroup (compile time only)
; SGPRBlocks: 1
; VGPRBlocks: 1
; NumSGPRsForWavesPerEU: 16
; NumVGPRsForWavesPerEU: 10
; AccumOffset: 12
; Occupancy: 8
; WaveLimiterHint : 0
; COMPUTE_PGM_RSRC2:SCRATCH_EN: 0
; COMPUTE_PGM_RSRC2:USER_SGPR: 6
; COMPUTE_PGM_RSRC2:TRAP_HANDLER: 0
; COMPUTE_PGM_RSRC2:TGID_X_EN: 1
; COMPUTE_PGM_RSRC2:TGID_Y_EN: 0
; COMPUTE_PGM_RSRC2:TGID_Z_EN: 0
; COMPUTE_PGM_RSRC2:TIDIG_COMP_CNT: 0
; COMPUTE_PGM_RSRC3_GFX90A:ACCUM_OFFSET: 2
; COMPUTE_PGM_RSRC3_GFX90A:TG_SPLIT: 0
	.section	.text._Z33tail_segmented_warp_reduce_kernelIihLj30ELj3EENSt9enable_ifIXsr10test_utilsE35device_test_enabled_for_warp_size_vIXT2_EEEvE4typeEPT_PT0_S4_,"axG",@progbits,_Z33tail_segmented_warp_reduce_kernelIihLj30ELj3EENSt9enable_ifIXsr10test_utilsE35device_test_enabled_for_warp_size_vIXT2_EEEvE4typeEPT_PT0_S4_,comdat
	.protected	_Z33tail_segmented_warp_reduce_kernelIihLj30ELj3EENSt9enable_ifIXsr10test_utilsE35device_test_enabled_for_warp_size_vIXT2_EEEvE4typeEPT_PT0_S4_ ; -- Begin function _Z33tail_segmented_warp_reduce_kernelIihLj30ELj3EENSt9enable_ifIXsr10test_utilsE35device_test_enabled_for_warp_size_vIXT2_EEEvE4typeEPT_PT0_S4_
	.globl	_Z33tail_segmented_warp_reduce_kernelIihLj30ELj3EENSt9enable_ifIXsr10test_utilsE35device_test_enabled_for_warp_size_vIXT2_EEEvE4typeEPT_PT0_S4_
	.p2align	8
	.type	_Z33tail_segmented_warp_reduce_kernelIihLj30ELj3EENSt9enable_ifIXsr10test_utilsE35device_test_enabled_for_warp_size_vIXT2_EEEvE4typeEPT_PT0_S4_,@function
_Z33tail_segmented_warp_reduce_kernelIihLj30ELj3EENSt9enable_ifIXsr10test_utilsE35device_test_enabled_for_warp_size_vIXT2_EEEvE4typeEPT_PT0_S4_: ; @_Z33tail_segmented_warp_reduce_kernelIihLj30ELj3EENSt9enable_ifIXsr10test_utilsE35device_test_enabled_for_warp_size_vIXT2_EEEvE4typeEPT_PT0_S4_
; %bb.0:
	s_load_dword s2, s[4:5], 0x24
	s_load_dwordx4 s[8:11], s[4:5], 0x0
	s_load_dwordx2 s[0:1], s[4:5], 0x10
	v_mov_b32_e32 v5, 0
	s_waitcnt lgkmcnt(0)
	s_and_b32 s2, s2, 0xffff
	s_mul_i32 s6, s6, s2
	v_add_u32_e32 v4, s6, v0
	global_load_ubyte v8, v4, s[10:11]
	v_lshlrev_b64 v[2:3], 2, v[4:5]
	v_mov_b32_e32 v1, s9
	v_add_co_u32_e32 v4, vcc, s8, v2
	v_addc_co_u32_e32 v5, vcc, v1, v3, vcc
	global_load_dword v1, v[4:5], off
	v_mbcnt_lo_u32_b32 v4, -1, 0
	s_mov_b32 s2, 0x55555556
	v_mul_u32_u24_e32 v0, 0x5556, v0
	v_mbcnt_hi_u32_b32 v4, -1, v4
	v_lshrrev_b32_e32 v5, 16, v0
	v_mul_hi_u32 v0, v4, s2
	v_lshlrev_b64 v[6:7], v4, -1
	v_mul_u32_u24_e32 v9, 3, v0
	v_sub_u32_e32 v0, v4, v9
	v_lshlrev_b32_e32 v4, 2, v0
	v_mad_u32_u24 v4, v5, 12, v4
	s_waitcnt vmcnt(1)
	v_cmp_ne_u16_e32 vcc, 0, v8
	v_and_b32_e32 v7, vcc_hi, v7
	v_and_b32_e32 v6, vcc_lo, v6
	v_lshrrev_b64 v[6:7], v9, v[6:7]
	v_or_b32_e32 v5, 4, v6
	v_ffbl_b32_e32 v6, v7
	v_add_u32_e32 v6, 32, v6
	v_ffbl_b32_e32 v5, v5
	v_min_u32_e32 v5, v5, v6
	v_cmp_lt_u32_e32 vcc, v0, v5
	s_waitcnt vmcnt(0)
	ds_write_b32 v4, v1
	; wave barrier
	s_and_saveexec_b64 s[2:3], vcc
	s_cbranch_execz .LBB210_2
; %bb.1:
	ds_read_b32 v6, v4 offset:4
	s_waitcnt lgkmcnt(0)
	v_add_u32_e32 v1, v6, v1
.LBB210_2:
	s_or_b64 exec, exec, s[2:3]
	v_add_u32_e32 v0, 2, v0
	v_cmp_le_u32_e32 vcc, v0, v5
	; wave barrier
	ds_write_b32 v4, v1
	; wave barrier
	s_and_saveexec_b64 s[2:3], vcc
	s_cbranch_execz .LBB210_4
; %bb.3:
	ds_read_b32 v0, v4 offset:8
	s_waitcnt lgkmcnt(0)
	v_add_u32_e32 v1, v0, v1
.LBB210_4:
	s_or_b64 exec, exec, s[2:3]
	v_mov_b32_e32 v0, s1
	v_add_co_u32_e32 v2, vcc, s0, v2
	v_addc_co_u32_e32 v3, vcc, v0, v3, vcc
	; wave barrier
	global_store_dword v[2:3], v1, off
	s_endpgm
	.section	.rodata,"a",@progbits
	.p2align	6, 0x0
	.amdhsa_kernel _Z33tail_segmented_warp_reduce_kernelIihLj30ELj3EENSt9enable_ifIXsr10test_utilsE35device_test_enabled_for_warp_size_vIXT2_EEEvE4typeEPT_PT0_S4_
		.amdhsa_group_segment_fixed_size 120
		.amdhsa_private_segment_fixed_size 0
		.amdhsa_kernarg_size 280
		.amdhsa_user_sgpr_count 6
		.amdhsa_user_sgpr_private_segment_buffer 1
		.amdhsa_user_sgpr_dispatch_ptr 0
		.amdhsa_user_sgpr_queue_ptr 0
		.amdhsa_user_sgpr_kernarg_segment_ptr 1
		.amdhsa_user_sgpr_dispatch_id 0
		.amdhsa_user_sgpr_flat_scratch_init 0
		.amdhsa_user_sgpr_kernarg_preload_length 0
		.amdhsa_user_sgpr_kernarg_preload_offset 0
		.amdhsa_user_sgpr_private_segment_size 0
		.amdhsa_uses_dynamic_stack 0
		.amdhsa_system_sgpr_private_segment_wavefront_offset 0
		.amdhsa_system_sgpr_workgroup_id_x 1
		.amdhsa_system_sgpr_workgroup_id_y 0
		.amdhsa_system_sgpr_workgroup_id_z 0
		.amdhsa_system_sgpr_workgroup_info 0
		.amdhsa_system_vgpr_workitem_id 0
		.amdhsa_next_free_vgpr 10
		.amdhsa_next_free_sgpr 12
		.amdhsa_accum_offset 12
		.amdhsa_reserve_vcc 1
		.amdhsa_reserve_flat_scratch 0
		.amdhsa_float_round_mode_32 0
		.amdhsa_float_round_mode_16_64 0
		.amdhsa_float_denorm_mode_32 3
		.amdhsa_float_denorm_mode_16_64 3
		.amdhsa_dx10_clamp 1
		.amdhsa_ieee_mode 1
		.amdhsa_fp16_overflow 0
		.amdhsa_tg_split 0
		.amdhsa_exception_fp_ieee_invalid_op 0
		.amdhsa_exception_fp_denorm_src 0
		.amdhsa_exception_fp_ieee_div_zero 0
		.amdhsa_exception_fp_ieee_overflow 0
		.amdhsa_exception_fp_ieee_underflow 0
		.amdhsa_exception_fp_ieee_inexact 0
		.amdhsa_exception_int_div_zero 0
	.end_amdhsa_kernel
	.section	.text._Z33tail_segmented_warp_reduce_kernelIihLj30ELj3EENSt9enable_ifIXsr10test_utilsE35device_test_enabled_for_warp_size_vIXT2_EEEvE4typeEPT_PT0_S4_,"axG",@progbits,_Z33tail_segmented_warp_reduce_kernelIihLj30ELj3EENSt9enable_ifIXsr10test_utilsE35device_test_enabled_for_warp_size_vIXT2_EEEvE4typeEPT_PT0_S4_,comdat
.Lfunc_end210:
	.size	_Z33tail_segmented_warp_reduce_kernelIihLj30ELj3EENSt9enable_ifIXsr10test_utilsE35device_test_enabled_for_warp_size_vIXT2_EEEvE4typeEPT_PT0_S4_, .Lfunc_end210-_Z33tail_segmented_warp_reduce_kernelIihLj30ELj3EENSt9enable_ifIXsr10test_utilsE35device_test_enabled_for_warp_size_vIXT2_EEEvE4typeEPT_PT0_S4_
                                        ; -- End function
	.section	.AMDGPU.csdata,"",@progbits
; Kernel info:
; codeLenInByte = 312
; NumSgprs: 16
; NumVgprs: 10
; NumAgprs: 0
; TotalNumVgprs: 10
; ScratchSize: 0
; MemoryBound: 0
; FloatMode: 240
; IeeeMode: 1
; LDSByteSize: 120 bytes/workgroup (compile time only)
; SGPRBlocks: 1
; VGPRBlocks: 1
; NumSGPRsForWavesPerEU: 16
; NumVGPRsForWavesPerEU: 10
; AccumOffset: 12
; Occupancy: 8
; WaveLimiterHint : 0
; COMPUTE_PGM_RSRC2:SCRATCH_EN: 0
; COMPUTE_PGM_RSRC2:USER_SGPR: 6
; COMPUTE_PGM_RSRC2:TRAP_HANDLER: 0
; COMPUTE_PGM_RSRC2:TGID_X_EN: 1
; COMPUTE_PGM_RSRC2:TGID_Y_EN: 0
; COMPUTE_PGM_RSRC2:TGID_Z_EN: 0
; COMPUTE_PGM_RSRC2:TIDIG_COMP_CNT: 0
; COMPUTE_PGM_RSRC3_GFX90A:ACCUM_OFFSET: 2
; COMPUTE_PGM_RSRC3_GFX90A:TG_SPLIT: 0
	.section	.text._Z33tail_segmented_warp_reduce_kernelIihLj63ELj3EENSt9enable_ifIXsr10test_utilsE35device_test_enabled_for_warp_size_vIXT2_EEEvE4typeEPT_PT0_S4_,"axG",@progbits,_Z33tail_segmented_warp_reduce_kernelIihLj63ELj3EENSt9enable_ifIXsr10test_utilsE35device_test_enabled_for_warp_size_vIXT2_EEEvE4typeEPT_PT0_S4_,comdat
	.protected	_Z33tail_segmented_warp_reduce_kernelIihLj63ELj3EENSt9enable_ifIXsr10test_utilsE35device_test_enabled_for_warp_size_vIXT2_EEEvE4typeEPT_PT0_S4_ ; -- Begin function _Z33tail_segmented_warp_reduce_kernelIihLj63ELj3EENSt9enable_ifIXsr10test_utilsE35device_test_enabled_for_warp_size_vIXT2_EEEvE4typeEPT_PT0_S4_
	.globl	_Z33tail_segmented_warp_reduce_kernelIihLj63ELj3EENSt9enable_ifIXsr10test_utilsE35device_test_enabled_for_warp_size_vIXT2_EEEvE4typeEPT_PT0_S4_
	.p2align	8
	.type	_Z33tail_segmented_warp_reduce_kernelIihLj63ELj3EENSt9enable_ifIXsr10test_utilsE35device_test_enabled_for_warp_size_vIXT2_EEEvE4typeEPT_PT0_S4_,@function
_Z33tail_segmented_warp_reduce_kernelIihLj63ELj3EENSt9enable_ifIXsr10test_utilsE35device_test_enabled_for_warp_size_vIXT2_EEEvE4typeEPT_PT0_S4_: ; @_Z33tail_segmented_warp_reduce_kernelIihLj63ELj3EENSt9enable_ifIXsr10test_utilsE35device_test_enabled_for_warp_size_vIXT2_EEEvE4typeEPT_PT0_S4_
; %bb.0:
	s_load_dword s2, s[4:5], 0x24
	s_load_dwordx4 s[8:11], s[4:5], 0x0
	s_load_dwordx2 s[0:1], s[4:5], 0x10
	v_mov_b32_e32 v5, 0
	s_waitcnt lgkmcnt(0)
	s_and_b32 s2, s2, 0xffff
	s_mul_i32 s6, s6, s2
	v_add_u32_e32 v4, s6, v0
	global_load_ubyte v8, v4, s[10:11]
	v_lshlrev_b64 v[2:3], 2, v[4:5]
	v_mov_b32_e32 v1, s9
	v_add_co_u32_e32 v4, vcc, s8, v2
	v_addc_co_u32_e32 v5, vcc, v1, v3, vcc
	global_load_dword v1, v[4:5], off
	v_mbcnt_lo_u32_b32 v4, -1, 0
	s_mov_b32 s2, 0x55555556
	v_mul_u32_u24_e32 v0, 0x5556, v0
	v_mbcnt_hi_u32_b32 v4, -1, v4
	v_lshrrev_b32_e32 v5, 16, v0
	v_mul_hi_u32 v0, v4, s2
	v_lshlrev_b64 v[6:7], v4, -1
	v_mul_u32_u24_e32 v9, 3, v0
	v_sub_u32_e32 v0, v4, v9
	v_lshlrev_b32_e32 v4, 2, v0
	v_mad_u32_u24 v4, v5, 12, v4
	s_waitcnt vmcnt(1)
	v_cmp_ne_u16_e32 vcc, 0, v8
	v_and_b32_e32 v7, vcc_hi, v7
	v_and_b32_e32 v6, vcc_lo, v6
	v_lshrrev_b64 v[6:7], v9, v[6:7]
	v_or_b32_e32 v5, 4, v6
	v_ffbl_b32_e32 v6, v7
	v_add_u32_e32 v6, 32, v6
	v_ffbl_b32_e32 v5, v5
	v_min_u32_e32 v5, v5, v6
	v_cmp_lt_u32_e32 vcc, v0, v5
	s_waitcnt vmcnt(0)
	ds_write_b32 v4, v1
	; wave barrier
	s_and_saveexec_b64 s[2:3], vcc
	s_cbranch_execz .LBB211_2
; %bb.1:
	ds_read_b32 v6, v4 offset:4
	s_waitcnt lgkmcnt(0)
	v_add_u32_e32 v1, v6, v1
.LBB211_2:
	s_or_b64 exec, exec, s[2:3]
	v_add_u32_e32 v0, 2, v0
	v_cmp_le_u32_e32 vcc, v0, v5
	; wave barrier
	ds_write_b32 v4, v1
	; wave barrier
	s_and_saveexec_b64 s[2:3], vcc
	s_cbranch_execz .LBB211_4
; %bb.3:
	ds_read_b32 v0, v4 offset:8
	s_waitcnt lgkmcnt(0)
	v_add_u32_e32 v1, v0, v1
.LBB211_4:
	s_or_b64 exec, exec, s[2:3]
	v_mov_b32_e32 v0, s1
	v_add_co_u32_e32 v2, vcc, s0, v2
	v_addc_co_u32_e32 v3, vcc, v0, v3, vcc
	; wave barrier
	global_store_dword v[2:3], v1, off
	s_endpgm
	.section	.rodata,"a",@progbits
	.p2align	6, 0x0
	.amdhsa_kernel _Z33tail_segmented_warp_reduce_kernelIihLj63ELj3EENSt9enable_ifIXsr10test_utilsE35device_test_enabled_for_warp_size_vIXT2_EEEvE4typeEPT_PT0_S4_
		.amdhsa_group_segment_fixed_size 252
		.amdhsa_private_segment_fixed_size 0
		.amdhsa_kernarg_size 280
		.amdhsa_user_sgpr_count 6
		.amdhsa_user_sgpr_private_segment_buffer 1
		.amdhsa_user_sgpr_dispatch_ptr 0
		.amdhsa_user_sgpr_queue_ptr 0
		.amdhsa_user_sgpr_kernarg_segment_ptr 1
		.amdhsa_user_sgpr_dispatch_id 0
		.amdhsa_user_sgpr_flat_scratch_init 0
		.amdhsa_user_sgpr_kernarg_preload_length 0
		.amdhsa_user_sgpr_kernarg_preload_offset 0
		.amdhsa_user_sgpr_private_segment_size 0
		.amdhsa_uses_dynamic_stack 0
		.amdhsa_system_sgpr_private_segment_wavefront_offset 0
		.amdhsa_system_sgpr_workgroup_id_x 1
		.amdhsa_system_sgpr_workgroup_id_y 0
		.amdhsa_system_sgpr_workgroup_id_z 0
		.amdhsa_system_sgpr_workgroup_info 0
		.amdhsa_system_vgpr_workitem_id 0
		.amdhsa_next_free_vgpr 10
		.amdhsa_next_free_sgpr 12
		.amdhsa_accum_offset 12
		.amdhsa_reserve_vcc 1
		.amdhsa_reserve_flat_scratch 0
		.amdhsa_float_round_mode_32 0
		.amdhsa_float_round_mode_16_64 0
		.amdhsa_float_denorm_mode_32 3
		.amdhsa_float_denorm_mode_16_64 3
		.amdhsa_dx10_clamp 1
		.amdhsa_ieee_mode 1
		.amdhsa_fp16_overflow 0
		.amdhsa_tg_split 0
		.amdhsa_exception_fp_ieee_invalid_op 0
		.amdhsa_exception_fp_denorm_src 0
		.amdhsa_exception_fp_ieee_div_zero 0
		.amdhsa_exception_fp_ieee_overflow 0
		.amdhsa_exception_fp_ieee_underflow 0
		.amdhsa_exception_fp_ieee_inexact 0
		.amdhsa_exception_int_div_zero 0
	.end_amdhsa_kernel
	.section	.text._Z33tail_segmented_warp_reduce_kernelIihLj63ELj3EENSt9enable_ifIXsr10test_utilsE35device_test_enabled_for_warp_size_vIXT2_EEEvE4typeEPT_PT0_S4_,"axG",@progbits,_Z33tail_segmented_warp_reduce_kernelIihLj63ELj3EENSt9enable_ifIXsr10test_utilsE35device_test_enabled_for_warp_size_vIXT2_EEEvE4typeEPT_PT0_S4_,comdat
.Lfunc_end211:
	.size	_Z33tail_segmented_warp_reduce_kernelIihLj63ELj3EENSt9enable_ifIXsr10test_utilsE35device_test_enabled_for_warp_size_vIXT2_EEEvE4typeEPT_PT0_S4_, .Lfunc_end211-_Z33tail_segmented_warp_reduce_kernelIihLj63ELj3EENSt9enable_ifIXsr10test_utilsE35device_test_enabled_for_warp_size_vIXT2_EEEvE4typeEPT_PT0_S4_
                                        ; -- End function
	.section	.AMDGPU.csdata,"",@progbits
; Kernel info:
; codeLenInByte = 312
; NumSgprs: 16
; NumVgprs: 10
; NumAgprs: 0
; TotalNumVgprs: 10
; ScratchSize: 0
; MemoryBound: 0
; FloatMode: 240
; IeeeMode: 1
; LDSByteSize: 252 bytes/workgroup (compile time only)
; SGPRBlocks: 1
; VGPRBlocks: 1
; NumSGPRsForWavesPerEU: 16
; NumVGPRsForWavesPerEU: 10
; AccumOffset: 12
; Occupancy: 8
; WaveLimiterHint : 0
; COMPUTE_PGM_RSRC2:SCRATCH_EN: 0
; COMPUTE_PGM_RSRC2:USER_SGPR: 6
; COMPUTE_PGM_RSRC2:TRAP_HANDLER: 0
; COMPUTE_PGM_RSRC2:TGID_X_EN: 1
; COMPUTE_PGM_RSRC2:TGID_Y_EN: 0
; COMPUTE_PGM_RSRC2:TGID_Z_EN: 0
; COMPUTE_PGM_RSRC2:TIDIG_COMP_CNT: 0
; COMPUTE_PGM_RSRC3_GFX90A:ACCUM_OFFSET: 2
; COMPUTE_PGM_RSRC3_GFX90A:TG_SPLIT: 0
	.section	.text._Z33tail_segmented_warp_reduce_kernelI12hip_bfloat16hLj256ELj64EENSt9enable_ifIXsr10test_utilsE35device_test_enabled_for_warp_size_vIXT2_EEEvE4typeEPT_PT0_S5_,"axG",@progbits,_Z33tail_segmented_warp_reduce_kernelI12hip_bfloat16hLj256ELj64EENSt9enable_ifIXsr10test_utilsE35device_test_enabled_for_warp_size_vIXT2_EEEvE4typeEPT_PT0_S5_,comdat
	.protected	_Z33tail_segmented_warp_reduce_kernelI12hip_bfloat16hLj256ELj64EENSt9enable_ifIXsr10test_utilsE35device_test_enabled_for_warp_size_vIXT2_EEEvE4typeEPT_PT0_S5_ ; -- Begin function _Z33tail_segmented_warp_reduce_kernelI12hip_bfloat16hLj256ELj64EENSt9enable_ifIXsr10test_utilsE35device_test_enabled_for_warp_size_vIXT2_EEEvE4typeEPT_PT0_S5_
	.globl	_Z33tail_segmented_warp_reduce_kernelI12hip_bfloat16hLj256ELj64EENSt9enable_ifIXsr10test_utilsE35device_test_enabled_for_warp_size_vIXT2_EEEvE4typeEPT_PT0_S5_
	.p2align	8
	.type	_Z33tail_segmented_warp_reduce_kernelI12hip_bfloat16hLj256ELj64EENSt9enable_ifIXsr10test_utilsE35device_test_enabled_for_warp_size_vIXT2_EEEvE4typeEPT_PT0_S5_,@function
_Z33tail_segmented_warp_reduce_kernelI12hip_bfloat16hLj256ELj64EENSt9enable_ifIXsr10test_utilsE35device_test_enabled_for_warp_size_vIXT2_EEEvE4typeEPT_PT0_S5_: ; @_Z33tail_segmented_warp_reduce_kernelI12hip_bfloat16hLj256ELj64EENSt9enable_ifIXsr10test_utilsE35device_test_enabled_for_warp_size_vIXT2_EEEvE4typeEPT_PT0_S5_
; %bb.0:
	s_load_dword s2, s[4:5], 0x24
	s_load_dwordx4 s[8:11], s[4:5], 0x0
	s_load_dwordx2 s[0:1], s[4:5], 0x10
	v_mov_b32_e32 v3, 0
	s_waitcnt lgkmcnt(0)
	s_and_b32 s2, s2, 0xffff
	s_mul_i32 s6, s6, s2
	v_add_u32_e32 v2, s6, v0
	v_lshlrev_b64 v[0:1], 1, v[2:3]
	v_mov_b32_e32 v3, s9
	global_load_ubyte v8, v2, s[10:11]
	v_add_co_u32_e32 v2, vcc, s8, v0
	v_addc_co_u32_e32 v3, vcc, v3, v1, vcc
	global_load_ushort v2, v[2:3], off
	v_mbcnt_lo_u32_b32 v3, -1, 0
	v_mbcnt_hi_u32_b32 v4, -1, v3
	v_and_b32_e32 v5, 63, v4
	v_cmp_ne_u32_e32 vcc, 63, v5
	v_addc_co_u32_e32 v3, vcc, 0, v4, vcc
	v_lshlrev_b64 v[6:7], v4, -1
	v_lshlrev_b32_e32 v9, 2, v3
	s_waitcnt vmcnt(1)
	v_cmp_ne_u16_e32 vcc, 0, v8
	v_and_b32_e32 v3, vcc_hi, v7
	v_or_b32_e32 v7, 0x80000000, v3
	v_ffbl_b32_e32 v8, v7
	v_and_b32_e32 v6, vcc_lo, v6
	s_waitcnt vmcnt(0)
	v_and_b32_e32 v3, 0xffff, v2
	ds_bpermute_b32 v7, v9, v3
	v_add_u32_e32 v8, 32, v8
	v_ffbl_b32_e32 v6, v6
	v_min_u32_e32 v6, v6, v8
	v_add_u32_e32 v8, 1, v4
	v_cmp_le_u32_e32 vcc, v8, v6
	s_and_saveexec_b64 s[2:3], vcc
	s_cbranch_execz .LBB212_6
; %bb.1:
	s_waitcnt lgkmcnt(0)
	v_lshlrev_b32_e32 v2, 16, v7
	v_lshlrev_b32_e32 v8, 16, v3
	v_pk_add_f32 v[2:3], v[2:3], v[8:9] op_sel_hi:[0,1]
	s_mov_b32 s4, 0x7f800000
	v_and_b32_e32 v3, 0x7f800000, v2
	v_cmp_ne_u32_e32 vcc, s4, v3
                                        ; implicit-def: $vgpr7
	s_and_saveexec_b64 s[4:5], vcc
	s_xor_b64 s[4:5], exec, s[4:5]
; %bb.2:
	v_bfe_u32 v3, v2, 16, 1
	s_movk_i32 s6, 0x7fff
	v_add3_u32 v7, v2, v3, s6
                                        ; implicit-def: $vgpr2_vgpr3
; %bb.3:
	s_andn2_saveexec_b64 s[4:5], s[4:5]
; %bb.4:
	v_mov_b32_e32 v3, 0
	v_or_b32_e32 v7, 0x10000, v2
	v_cmp_eq_u32_sdwa vcc, v2, v3 src0_sel:WORD_0 src1_sel:DWORD
	v_cndmask_b32_e32 v7, v7, v2, vcc
; %bb.5:
	s_or_b64 exec, exec, s[4:5]
	v_lshrrev_b32_e32 v3, 16, v7
	v_mov_b32_e32 v2, v3
.LBB212_6:
	s_or_b64 exec, exec, s[2:3]
	v_cmp_gt_u32_e32 vcc, 62, v5
	s_waitcnt lgkmcnt(0)
	v_cndmask_b32_e64 v7, 0, 1, vcc
	v_lshlrev_b32_e32 v7, 1, v7
	v_add_lshl_u32 v7, v7, v4, 2
	ds_bpermute_b32 v7, v7, v3
	v_add_u32_e32 v8, 2, v4
	v_cmp_le_u32_e32 vcc, v8, v6
	s_and_saveexec_b64 s[2:3], vcc
	s_cbranch_execz .LBB212_12
; %bb.7:
	s_waitcnt lgkmcnt(0)
	v_lshlrev_b32_e32 v2, 16, v7
	v_lshlrev_b32_e32 v8, 16, v3
	v_pk_add_f32 v[2:3], v[2:3], v[8:9] op_sel_hi:[0,1]
	s_mov_b32 s4, 0x7f800000
	v_and_b32_e32 v3, 0x7f800000, v2
	v_cmp_ne_u32_e32 vcc, s4, v3
                                        ; implicit-def: $vgpr7
	s_and_saveexec_b64 s[4:5], vcc
	s_xor_b64 s[4:5], exec, s[4:5]
; %bb.8:
	v_bfe_u32 v3, v2, 16, 1
	s_movk_i32 s6, 0x7fff
	v_add3_u32 v7, v2, v3, s6
                                        ; implicit-def: $vgpr2_vgpr3
; %bb.9:
	s_andn2_saveexec_b64 s[4:5], s[4:5]
; %bb.10:
	v_mov_b32_e32 v3, 0
	v_or_b32_e32 v7, 0x10000, v2
	v_cmp_eq_u32_sdwa vcc, v2, v3 src0_sel:WORD_0 src1_sel:DWORD
	v_cndmask_b32_e32 v7, v7, v2, vcc
; %bb.11:
	s_or_b64 exec, exec, s[4:5]
	v_lshrrev_b32_e32 v3, 16, v7
	v_mov_b32_e32 v2, v3
.LBB212_12:
	s_or_b64 exec, exec, s[2:3]
	v_cmp_gt_u32_e32 vcc, 60, v5
	s_waitcnt lgkmcnt(0)
	v_cndmask_b32_e64 v7, 0, 1, vcc
	v_lshlrev_b32_e32 v7, 2, v7
	v_add_lshl_u32 v7, v7, v4, 2
	ds_bpermute_b32 v7, v7, v3
	;; [unrolled: 39-line block ×4, first 2 shown]
	v_add_u32_e32 v8, 16, v4
	v_cmp_le_u32_e32 vcc, v8, v6
	s_and_saveexec_b64 s[2:3], vcc
	s_cbranch_execz .LBB212_30
; %bb.25:
	s_waitcnt lgkmcnt(0)
	v_lshlrev_b32_e32 v2, 16, v7
	v_lshlrev_b32_e32 v8, 16, v3
	v_pk_add_f32 v[2:3], v[2:3], v[8:9] op_sel_hi:[0,1]
	s_mov_b32 s4, 0x7f800000
	v_and_b32_e32 v3, 0x7f800000, v2
	v_cmp_ne_u32_e32 vcc, s4, v3
                                        ; implicit-def: $vgpr7
	s_and_saveexec_b64 s[4:5], vcc
	s_xor_b64 s[4:5], exec, s[4:5]
; %bb.26:
	v_bfe_u32 v3, v2, 16, 1
	s_movk_i32 s6, 0x7fff
	v_add3_u32 v7, v2, v3, s6
                                        ; implicit-def: $vgpr2_vgpr3
; %bb.27:
	s_andn2_saveexec_b64 s[4:5], s[4:5]
; %bb.28:
	v_mov_b32_e32 v3, 0
	v_or_b32_e32 v7, 0x10000, v2
	v_cmp_eq_u32_sdwa vcc, v2, v3 src0_sel:WORD_0 src1_sel:DWORD
	v_cndmask_b32_e32 v7, v7, v2, vcc
; %bb.29:
	s_or_b64 exec, exec, s[4:5]
	v_lshrrev_b32_e32 v3, 16, v7
	v_mov_b32_e32 v2, v3
.LBB212_30:
	s_or_b64 exec, exec, s[2:3]
	v_cmp_gt_u32_e32 vcc, 32, v5
	v_cndmask_b32_e64 v5, 0, 1, vcc
	v_lshlrev_b32_e32 v5, 5, v5
	v_add_lshl_u32 v5, v5, v4, 2
	ds_bpermute_b32 v5, v5, v3
	v_add_u32_e32 v4, 32, v4
	v_cmp_le_u32_e32 vcc, v4, v6
	s_and_saveexec_b64 s[2:3], vcc
	s_cbranch_execz .LBB212_36
; %bb.31:
	s_waitcnt lgkmcnt(0)
	v_lshlrev_b32_e32 v2, 16, v5
	v_lshlrev_b32_e32 v4, 16, v3
	v_pk_add_f32 v[2:3], v[2:3], v[4:5] op_sel_hi:[0,1]
	s_mov_b32 s4, 0x7f800000
	v_and_b32_e32 v3, 0x7f800000, v2
	v_cmp_ne_u32_e32 vcc, s4, v3
                                        ; implicit-def: $vgpr4
	s_and_saveexec_b64 s[4:5], vcc
	s_xor_b64 s[4:5], exec, s[4:5]
; %bb.32:
	v_bfe_u32 v3, v2, 16, 1
	s_movk_i32 s6, 0x7fff
	v_add3_u32 v4, v2, v3, s6
                                        ; implicit-def: $vgpr2_vgpr3
; %bb.33:
	s_andn2_saveexec_b64 s[4:5], s[4:5]
; %bb.34:
	v_mov_b32_e32 v3, 0
	v_or_b32_e32 v4, 0x10000, v2
	v_cmp_eq_u32_sdwa vcc, v2, v3 src0_sel:WORD_0 src1_sel:DWORD
	v_cndmask_b32_e32 v4, v4, v2, vcc
; %bb.35:
	s_or_b64 exec, exec, s[4:5]
	v_lshrrev_b32_e32 v2, 16, v4
.LBB212_36:
	s_or_b64 exec, exec, s[2:3]
	v_mov_b32_e32 v3, s1
	v_add_co_u32_e32 v0, vcc, s0, v0
	v_addc_co_u32_e32 v1, vcc, v3, v1, vcc
	global_store_short v[0:1], v2, off
	s_endpgm
	.section	.rodata,"a",@progbits
	.p2align	6, 0x0
	.amdhsa_kernel _Z33tail_segmented_warp_reduce_kernelI12hip_bfloat16hLj256ELj64EENSt9enable_ifIXsr10test_utilsE35device_test_enabled_for_warp_size_vIXT2_EEEvE4typeEPT_PT0_S5_
		.amdhsa_group_segment_fixed_size 0
		.amdhsa_private_segment_fixed_size 0
		.amdhsa_kernarg_size 280
		.amdhsa_user_sgpr_count 6
		.amdhsa_user_sgpr_private_segment_buffer 1
		.amdhsa_user_sgpr_dispatch_ptr 0
		.amdhsa_user_sgpr_queue_ptr 0
		.amdhsa_user_sgpr_kernarg_segment_ptr 1
		.amdhsa_user_sgpr_dispatch_id 0
		.amdhsa_user_sgpr_flat_scratch_init 0
		.amdhsa_user_sgpr_kernarg_preload_length 0
		.amdhsa_user_sgpr_kernarg_preload_offset 0
		.amdhsa_user_sgpr_private_segment_size 0
		.amdhsa_uses_dynamic_stack 0
		.amdhsa_system_sgpr_private_segment_wavefront_offset 0
		.amdhsa_system_sgpr_workgroup_id_x 1
		.amdhsa_system_sgpr_workgroup_id_y 0
		.amdhsa_system_sgpr_workgroup_id_z 0
		.amdhsa_system_sgpr_workgroup_info 0
		.amdhsa_system_vgpr_workitem_id 0
		.amdhsa_next_free_vgpr 10
		.amdhsa_next_free_sgpr 12
		.amdhsa_accum_offset 12
		.amdhsa_reserve_vcc 1
		.amdhsa_reserve_flat_scratch 0
		.amdhsa_float_round_mode_32 0
		.amdhsa_float_round_mode_16_64 0
		.amdhsa_float_denorm_mode_32 3
		.amdhsa_float_denorm_mode_16_64 3
		.amdhsa_dx10_clamp 1
		.amdhsa_ieee_mode 1
		.amdhsa_fp16_overflow 0
		.amdhsa_tg_split 0
		.amdhsa_exception_fp_ieee_invalid_op 0
		.amdhsa_exception_fp_denorm_src 0
		.amdhsa_exception_fp_ieee_div_zero 0
		.amdhsa_exception_fp_ieee_overflow 0
		.amdhsa_exception_fp_ieee_underflow 0
		.amdhsa_exception_fp_ieee_inexact 0
		.amdhsa_exception_int_div_zero 0
	.end_amdhsa_kernel
	.section	.text._Z33tail_segmented_warp_reduce_kernelI12hip_bfloat16hLj256ELj64EENSt9enable_ifIXsr10test_utilsE35device_test_enabled_for_warp_size_vIXT2_EEEvE4typeEPT_PT0_S5_,"axG",@progbits,_Z33tail_segmented_warp_reduce_kernelI12hip_bfloat16hLj256ELj64EENSt9enable_ifIXsr10test_utilsE35device_test_enabled_for_warp_size_vIXT2_EEEvE4typeEPT_PT0_S5_,comdat
.Lfunc_end212:
	.size	_Z33tail_segmented_warp_reduce_kernelI12hip_bfloat16hLj256ELj64EENSt9enable_ifIXsr10test_utilsE35device_test_enabled_for_warp_size_vIXT2_EEEvE4typeEPT_PT0_S5_, .Lfunc_end212-_Z33tail_segmented_warp_reduce_kernelI12hip_bfloat16hLj256ELj64EENSt9enable_ifIXsr10test_utilsE35device_test_enabled_for_warp_size_vIXT2_EEEvE4typeEPT_PT0_S5_
                                        ; -- End function
	.section	.AMDGPU.csdata,"",@progbits
; Kernel info:
; codeLenInByte = 1148
; NumSgprs: 16
; NumVgprs: 10
; NumAgprs: 0
; TotalNumVgprs: 10
; ScratchSize: 0
; MemoryBound: 0
; FloatMode: 240
; IeeeMode: 1
; LDSByteSize: 0 bytes/workgroup (compile time only)
; SGPRBlocks: 1
; VGPRBlocks: 1
; NumSGPRsForWavesPerEU: 16
; NumVGPRsForWavesPerEU: 10
; AccumOffset: 12
; Occupancy: 8
; WaveLimiterHint : 0
; COMPUTE_PGM_RSRC2:SCRATCH_EN: 0
; COMPUTE_PGM_RSRC2:USER_SGPR: 6
; COMPUTE_PGM_RSRC2:TRAP_HANDLER: 0
; COMPUTE_PGM_RSRC2:TGID_X_EN: 1
; COMPUTE_PGM_RSRC2:TGID_Y_EN: 0
; COMPUTE_PGM_RSRC2:TGID_Z_EN: 0
; COMPUTE_PGM_RSRC2:TIDIG_COMP_CNT: 0
; COMPUTE_PGM_RSRC3_GFX90A:ACCUM_OFFSET: 2
; COMPUTE_PGM_RSRC3_GFX90A:TG_SPLIT: 0
	.section	.text._Z33tail_segmented_warp_reduce_kernelI12hip_bfloat16hLj128ELj32EENSt9enable_ifIXsr10test_utilsE35device_test_enabled_for_warp_size_vIXT2_EEEvE4typeEPT_PT0_S5_,"axG",@progbits,_Z33tail_segmented_warp_reduce_kernelI12hip_bfloat16hLj128ELj32EENSt9enable_ifIXsr10test_utilsE35device_test_enabled_for_warp_size_vIXT2_EEEvE4typeEPT_PT0_S5_,comdat
	.protected	_Z33tail_segmented_warp_reduce_kernelI12hip_bfloat16hLj128ELj32EENSt9enable_ifIXsr10test_utilsE35device_test_enabled_for_warp_size_vIXT2_EEEvE4typeEPT_PT0_S5_ ; -- Begin function _Z33tail_segmented_warp_reduce_kernelI12hip_bfloat16hLj128ELj32EENSt9enable_ifIXsr10test_utilsE35device_test_enabled_for_warp_size_vIXT2_EEEvE4typeEPT_PT0_S5_
	.globl	_Z33tail_segmented_warp_reduce_kernelI12hip_bfloat16hLj128ELj32EENSt9enable_ifIXsr10test_utilsE35device_test_enabled_for_warp_size_vIXT2_EEEvE4typeEPT_PT0_S5_
	.p2align	8
	.type	_Z33tail_segmented_warp_reduce_kernelI12hip_bfloat16hLj128ELj32EENSt9enable_ifIXsr10test_utilsE35device_test_enabled_for_warp_size_vIXT2_EEEvE4typeEPT_PT0_S5_,@function
_Z33tail_segmented_warp_reduce_kernelI12hip_bfloat16hLj128ELj32EENSt9enable_ifIXsr10test_utilsE35device_test_enabled_for_warp_size_vIXT2_EEEvE4typeEPT_PT0_S5_: ; @_Z33tail_segmented_warp_reduce_kernelI12hip_bfloat16hLj128ELj32EENSt9enable_ifIXsr10test_utilsE35device_test_enabled_for_warp_size_vIXT2_EEEvE4typeEPT_PT0_S5_
; %bb.0:
	s_load_dword s2, s[4:5], 0x24
	s_load_dwordx4 s[8:11], s[4:5], 0x0
	s_load_dwordx2 s[0:1], s[4:5], 0x10
	v_mov_b32_e32 v3, 0
	s_waitcnt lgkmcnt(0)
	s_and_b32 s2, s2, 0xffff
	s_mul_i32 s6, s6, s2
	v_add_u32_e32 v2, s6, v0
	v_lshlrev_b64 v[0:1], 1, v[2:3]
	v_mov_b32_e32 v3, s9
	global_load_ubyte v8, v2, s[10:11]
	v_add_co_u32_e32 v2, vcc, s8, v0
	v_addc_co_u32_e32 v3, vcc, v3, v1, vcc
	global_load_ushort v2, v[2:3], off
	v_mbcnt_lo_u32_b32 v3, -1, 0
	v_mbcnt_hi_u32_b32 v4, -1, v3
	v_and_b32_e32 v5, 31, v4
	v_cmp_ne_u32_e32 vcc, 31, v5
	v_addc_co_u32_e32 v9, vcc, 0, v4, vcc
	v_lshlrev_b64 v[6:7], v4, -1
	v_and_b32_e32 v3, 0x60, v4
	v_lshlrev_b32_e32 v9, 2, v9
	s_waitcnt vmcnt(1)
	v_cmp_ne_u16_e32 vcc, 0, v8
	v_and_b32_e32 v7, vcc_hi, v7
	v_and_b32_e32 v6, vcc_lo, v6
	v_lshrrev_b64 v[6:7], v3, v[6:7]
	v_ffbl_b32_e32 v8, v7
	s_waitcnt vmcnt(0)
	v_and_b32_e32 v3, 0xffff, v2
	ds_bpermute_b32 v7, v9, v3
	v_or_b32_e32 v6, 0x80000000, v6
	v_add_u32_e32 v8, 32, v8
	v_ffbl_b32_e32 v6, v6
	v_min_u32_e32 v6, v6, v8
	v_cmp_lt_u32_e32 vcc, v5, v6
	s_and_saveexec_b64 s[2:3], vcc
	s_cbranch_execz .LBB213_6
; %bb.1:
	s_waitcnt lgkmcnt(0)
	v_lshlrev_b32_e32 v2, 16, v7
	v_lshlrev_b32_e32 v8, 16, v3
	v_pk_add_f32 v[2:3], v[2:3], v[8:9] op_sel_hi:[0,1]
	s_mov_b32 s4, 0x7f800000
	v_and_b32_e32 v3, 0x7f800000, v2
	v_cmp_ne_u32_e32 vcc, s4, v3
                                        ; implicit-def: $vgpr7
	s_and_saveexec_b64 s[4:5], vcc
	s_xor_b64 s[4:5], exec, s[4:5]
; %bb.2:
	v_bfe_u32 v3, v2, 16, 1
	s_movk_i32 s6, 0x7fff
	v_add3_u32 v7, v2, v3, s6
                                        ; implicit-def: $vgpr2_vgpr3
; %bb.3:
	s_andn2_saveexec_b64 s[4:5], s[4:5]
; %bb.4:
	v_mov_b32_e32 v3, 0
	v_or_b32_e32 v7, 0x10000, v2
	v_cmp_eq_u32_sdwa vcc, v2, v3 src0_sel:WORD_0 src1_sel:DWORD
	v_cndmask_b32_e32 v7, v7, v2, vcc
; %bb.5:
	s_or_b64 exec, exec, s[4:5]
	v_lshrrev_b32_e32 v3, 16, v7
	v_mov_b32_e32 v2, v3
.LBB213_6:
	s_or_b64 exec, exec, s[2:3]
	v_cmp_gt_u32_e32 vcc, 30, v5
	s_waitcnt lgkmcnt(0)
	v_cndmask_b32_e64 v7, 0, 1, vcc
	v_lshlrev_b32_e32 v7, 1, v7
	v_add_lshl_u32 v7, v7, v4, 2
	ds_bpermute_b32 v7, v7, v3
	v_add_u32_e32 v8, 2, v5
	v_cmp_le_u32_e32 vcc, v8, v6
	s_and_saveexec_b64 s[2:3], vcc
	s_cbranch_execz .LBB213_12
; %bb.7:
	s_waitcnt lgkmcnt(0)
	v_lshlrev_b32_e32 v2, 16, v7
	v_lshlrev_b32_e32 v8, 16, v3
	v_pk_add_f32 v[2:3], v[2:3], v[8:9] op_sel_hi:[0,1]
	s_mov_b32 s4, 0x7f800000
	v_and_b32_e32 v3, 0x7f800000, v2
	v_cmp_ne_u32_e32 vcc, s4, v3
                                        ; implicit-def: $vgpr7
	s_and_saveexec_b64 s[4:5], vcc
	s_xor_b64 s[4:5], exec, s[4:5]
; %bb.8:
	v_bfe_u32 v3, v2, 16, 1
	s_movk_i32 s6, 0x7fff
	v_add3_u32 v7, v2, v3, s6
                                        ; implicit-def: $vgpr2_vgpr3
; %bb.9:
	s_andn2_saveexec_b64 s[4:5], s[4:5]
; %bb.10:
	v_mov_b32_e32 v3, 0
	v_or_b32_e32 v7, 0x10000, v2
	v_cmp_eq_u32_sdwa vcc, v2, v3 src0_sel:WORD_0 src1_sel:DWORD
	v_cndmask_b32_e32 v7, v7, v2, vcc
; %bb.11:
	s_or_b64 exec, exec, s[4:5]
	v_lshrrev_b32_e32 v3, 16, v7
	v_mov_b32_e32 v2, v3
.LBB213_12:
	s_or_b64 exec, exec, s[2:3]
	v_cmp_gt_u32_e32 vcc, 28, v5
	s_waitcnt lgkmcnt(0)
	v_cndmask_b32_e64 v7, 0, 1, vcc
	v_lshlrev_b32_e32 v7, 2, v7
	v_add_lshl_u32 v7, v7, v4, 2
	ds_bpermute_b32 v7, v7, v3
	v_add_u32_e32 v8, 4, v5
	v_cmp_le_u32_e32 vcc, v8, v6
	;; [unrolled: 39-line block ×4, first 2 shown]
	s_and_saveexec_b64 s[2:3], vcc
	s_cbranch_execz .LBB213_30
; %bb.25:
	s_waitcnt lgkmcnt(0)
	v_lshlrev_b32_e32 v2, 16, v4
	v_lshlrev_b32_e32 v4, 16, v3
	v_pk_add_f32 v[2:3], v[2:3], v[4:5] op_sel_hi:[0,1]
	s_mov_b32 s4, 0x7f800000
	v_and_b32_e32 v3, 0x7f800000, v2
	v_cmp_ne_u32_e32 vcc, s4, v3
                                        ; implicit-def: $vgpr4
	s_and_saveexec_b64 s[4:5], vcc
	s_xor_b64 s[4:5], exec, s[4:5]
; %bb.26:
	v_bfe_u32 v3, v2, 16, 1
	s_movk_i32 s6, 0x7fff
	v_add3_u32 v4, v2, v3, s6
                                        ; implicit-def: $vgpr2_vgpr3
; %bb.27:
	s_andn2_saveexec_b64 s[4:5], s[4:5]
; %bb.28:
	v_mov_b32_e32 v3, 0
	v_or_b32_e32 v4, 0x10000, v2
	v_cmp_eq_u32_sdwa vcc, v2, v3 src0_sel:WORD_0 src1_sel:DWORD
	v_cndmask_b32_e32 v4, v4, v2, vcc
; %bb.29:
	s_or_b64 exec, exec, s[4:5]
	v_lshrrev_b32_e32 v2, 16, v4
.LBB213_30:
	s_or_b64 exec, exec, s[2:3]
	v_mov_b32_e32 v3, s1
	v_add_co_u32_e32 v0, vcc, s0, v0
	v_addc_co_u32_e32 v1, vcc, v3, v1, vcc
	global_store_short v[0:1], v2, off
	s_endpgm
	.section	.rodata,"a",@progbits
	.p2align	6, 0x0
	.amdhsa_kernel _Z33tail_segmented_warp_reduce_kernelI12hip_bfloat16hLj128ELj32EENSt9enable_ifIXsr10test_utilsE35device_test_enabled_for_warp_size_vIXT2_EEEvE4typeEPT_PT0_S5_
		.amdhsa_group_segment_fixed_size 0
		.amdhsa_private_segment_fixed_size 0
		.amdhsa_kernarg_size 280
		.amdhsa_user_sgpr_count 6
		.amdhsa_user_sgpr_private_segment_buffer 1
		.amdhsa_user_sgpr_dispatch_ptr 0
		.amdhsa_user_sgpr_queue_ptr 0
		.amdhsa_user_sgpr_kernarg_segment_ptr 1
		.amdhsa_user_sgpr_dispatch_id 0
		.amdhsa_user_sgpr_flat_scratch_init 0
		.amdhsa_user_sgpr_kernarg_preload_length 0
		.amdhsa_user_sgpr_kernarg_preload_offset 0
		.amdhsa_user_sgpr_private_segment_size 0
		.amdhsa_uses_dynamic_stack 0
		.amdhsa_system_sgpr_private_segment_wavefront_offset 0
		.amdhsa_system_sgpr_workgroup_id_x 1
		.amdhsa_system_sgpr_workgroup_id_y 0
		.amdhsa_system_sgpr_workgroup_id_z 0
		.amdhsa_system_sgpr_workgroup_info 0
		.amdhsa_system_vgpr_workitem_id 0
		.amdhsa_next_free_vgpr 10
		.amdhsa_next_free_sgpr 12
		.amdhsa_accum_offset 12
		.amdhsa_reserve_vcc 1
		.amdhsa_reserve_flat_scratch 0
		.amdhsa_float_round_mode_32 0
		.amdhsa_float_round_mode_16_64 0
		.amdhsa_float_denorm_mode_32 3
		.amdhsa_float_denorm_mode_16_64 3
		.amdhsa_dx10_clamp 1
		.amdhsa_ieee_mode 1
		.amdhsa_fp16_overflow 0
		.amdhsa_tg_split 0
		.amdhsa_exception_fp_ieee_invalid_op 0
		.amdhsa_exception_fp_denorm_src 0
		.amdhsa_exception_fp_ieee_div_zero 0
		.amdhsa_exception_fp_ieee_overflow 0
		.amdhsa_exception_fp_ieee_underflow 0
		.amdhsa_exception_fp_ieee_inexact 0
		.amdhsa_exception_int_div_zero 0
	.end_amdhsa_kernel
	.section	.text._Z33tail_segmented_warp_reduce_kernelI12hip_bfloat16hLj128ELj32EENSt9enable_ifIXsr10test_utilsE35device_test_enabled_for_warp_size_vIXT2_EEEvE4typeEPT_PT0_S5_,"axG",@progbits,_Z33tail_segmented_warp_reduce_kernelI12hip_bfloat16hLj128ELj32EENSt9enable_ifIXsr10test_utilsE35device_test_enabled_for_warp_size_vIXT2_EEEvE4typeEPT_PT0_S5_,comdat
.Lfunc_end213:
	.size	_Z33tail_segmented_warp_reduce_kernelI12hip_bfloat16hLj128ELj32EENSt9enable_ifIXsr10test_utilsE35device_test_enabled_for_warp_size_vIXT2_EEEvE4typeEPT_PT0_S5_, .Lfunc_end213-_Z33tail_segmented_warp_reduce_kernelI12hip_bfloat16hLj128ELj32EENSt9enable_ifIXsr10test_utilsE35device_test_enabled_for_warp_size_vIXT2_EEEvE4typeEPT_PT0_S5_
                                        ; -- End function
	.section	.AMDGPU.csdata,"",@progbits
; Kernel info:
; codeLenInByte = 1000
; NumSgprs: 16
; NumVgprs: 10
; NumAgprs: 0
; TotalNumVgprs: 10
; ScratchSize: 0
; MemoryBound: 0
; FloatMode: 240
; IeeeMode: 1
; LDSByteSize: 0 bytes/workgroup (compile time only)
; SGPRBlocks: 1
; VGPRBlocks: 1
; NumSGPRsForWavesPerEU: 16
; NumVGPRsForWavesPerEU: 10
; AccumOffset: 12
; Occupancy: 8
; WaveLimiterHint : 0
; COMPUTE_PGM_RSRC2:SCRATCH_EN: 0
; COMPUTE_PGM_RSRC2:USER_SGPR: 6
; COMPUTE_PGM_RSRC2:TRAP_HANDLER: 0
; COMPUTE_PGM_RSRC2:TGID_X_EN: 1
; COMPUTE_PGM_RSRC2:TGID_Y_EN: 0
; COMPUTE_PGM_RSRC2:TGID_Z_EN: 0
; COMPUTE_PGM_RSRC2:TIDIG_COMP_CNT: 0
; COMPUTE_PGM_RSRC3_GFX90A:ACCUM_OFFSET: 2
; COMPUTE_PGM_RSRC3_GFX90A:TG_SPLIT: 0
	.section	.text._Z33tail_segmented_warp_reduce_kernelI12hip_bfloat16hLj64ELj16EENSt9enable_ifIXsr10test_utilsE35device_test_enabled_for_warp_size_vIXT2_EEEvE4typeEPT_PT0_S5_,"axG",@progbits,_Z33tail_segmented_warp_reduce_kernelI12hip_bfloat16hLj64ELj16EENSt9enable_ifIXsr10test_utilsE35device_test_enabled_for_warp_size_vIXT2_EEEvE4typeEPT_PT0_S5_,comdat
	.protected	_Z33tail_segmented_warp_reduce_kernelI12hip_bfloat16hLj64ELj16EENSt9enable_ifIXsr10test_utilsE35device_test_enabled_for_warp_size_vIXT2_EEEvE4typeEPT_PT0_S5_ ; -- Begin function _Z33tail_segmented_warp_reduce_kernelI12hip_bfloat16hLj64ELj16EENSt9enable_ifIXsr10test_utilsE35device_test_enabled_for_warp_size_vIXT2_EEEvE4typeEPT_PT0_S5_
	.globl	_Z33tail_segmented_warp_reduce_kernelI12hip_bfloat16hLj64ELj16EENSt9enable_ifIXsr10test_utilsE35device_test_enabled_for_warp_size_vIXT2_EEEvE4typeEPT_PT0_S5_
	.p2align	8
	.type	_Z33tail_segmented_warp_reduce_kernelI12hip_bfloat16hLj64ELj16EENSt9enable_ifIXsr10test_utilsE35device_test_enabled_for_warp_size_vIXT2_EEEvE4typeEPT_PT0_S5_,@function
_Z33tail_segmented_warp_reduce_kernelI12hip_bfloat16hLj64ELj16EENSt9enable_ifIXsr10test_utilsE35device_test_enabled_for_warp_size_vIXT2_EEEvE4typeEPT_PT0_S5_: ; @_Z33tail_segmented_warp_reduce_kernelI12hip_bfloat16hLj64ELj16EENSt9enable_ifIXsr10test_utilsE35device_test_enabled_for_warp_size_vIXT2_EEEvE4typeEPT_PT0_S5_
; %bb.0:
	s_load_dword s2, s[4:5], 0x24
	s_load_dwordx4 s[8:11], s[4:5], 0x0
	s_load_dwordx2 s[0:1], s[4:5], 0x10
	v_mov_b32_e32 v3, 0
	s_waitcnt lgkmcnt(0)
	s_and_b32 s2, s2, 0xffff
	s_mul_i32 s6, s6, s2
	v_add_u32_e32 v2, s6, v0
	v_lshlrev_b64 v[0:1], 1, v[2:3]
	v_mov_b32_e32 v3, s9
	global_load_ubyte v8, v2, s[10:11]
	v_add_co_u32_e32 v2, vcc, s8, v0
	v_addc_co_u32_e32 v3, vcc, v3, v1, vcc
	global_load_ushort v2, v[2:3], off
	v_mbcnt_lo_u32_b32 v3, -1, 0
	v_mbcnt_hi_u32_b32 v4, -1, v3
	v_and_b32_e32 v5, 15, v4
	v_cmp_ne_u32_e32 vcc, 15, v5
	v_addc_co_u32_e32 v9, vcc, 0, v4, vcc
	v_lshlrev_b64 v[6:7], v4, -1
	v_and_b32_e32 v3, 0x70, v4
	v_lshlrev_b32_e32 v9, 2, v9
	s_waitcnt vmcnt(1)
	v_cmp_ne_u16_e32 vcc, 0, v8
	v_and_b32_e32 v7, vcc_hi, v7
	v_and_b32_e32 v6, vcc_lo, v6
	v_lshrrev_b64 v[6:7], v3, v[6:7]
	v_ffbl_b32_e32 v8, v7
	s_waitcnt vmcnt(0)
	v_and_b32_e32 v3, 0xffff, v2
	ds_bpermute_b32 v7, v9, v3
	v_or_b32_e32 v6, 0x8000, v6
	v_add_u32_e32 v8, 32, v8
	v_ffbl_b32_e32 v6, v6
	v_min_u32_e32 v6, v6, v8
	v_cmp_lt_u32_e32 vcc, v5, v6
	s_and_saveexec_b64 s[2:3], vcc
	s_cbranch_execz .LBB214_6
; %bb.1:
	s_waitcnt lgkmcnt(0)
	v_lshlrev_b32_e32 v2, 16, v7
	v_lshlrev_b32_e32 v8, 16, v3
	v_pk_add_f32 v[2:3], v[2:3], v[8:9] op_sel_hi:[0,1]
	s_mov_b32 s4, 0x7f800000
	v_and_b32_e32 v3, 0x7f800000, v2
	v_cmp_ne_u32_e32 vcc, s4, v3
                                        ; implicit-def: $vgpr7
	s_and_saveexec_b64 s[4:5], vcc
	s_xor_b64 s[4:5], exec, s[4:5]
; %bb.2:
	v_bfe_u32 v3, v2, 16, 1
	s_movk_i32 s6, 0x7fff
	v_add3_u32 v7, v2, v3, s6
                                        ; implicit-def: $vgpr2_vgpr3
; %bb.3:
	s_andn2_saveexec_b64 s[4:5], s[4:5]
; %bb.4:
	v_mov_b32_e32 v3, 0
	v_or_b32_e32 v7, 0x10000, v2
	v_cmp_eq_u32_sdwa vcc, v2, v3 src0_sel:WORD_0 src1_sel:DWORD
	v_cndmask_b32_e32 v7, v7, v2, vcc
; %bb.5:
	s_or_b64 exec, exec, s[4:5]
	v_lshrrev_b32_e32 v3, 16, v7
	v_mov_b32_e32 v2, v3
.LBB214_6:
	s_or_b64 exec, exec, s[2:3]
	v_cmp_gt_u32_e32 vcc, 14, v5
	s_waitcnt lgkmcnt(0)
	v_cndmask_b32_e64 v7, 0, 1, vcc
	v_lshlrev_b32_e32 v7, 1, v7
	v_add_lshl_u32 v7, v7, v4, 2
	ds_bpermute_b32 v7, v7, v3
	v_add_u32_e32 v8, 2, v5
	v_cmp_le_u32_e32 vcc, v8, v6
	s_and_saveexec_b64 s[2:3], vcc
	s_cbranch_execz .LBB214_12
; %bb.7:
	s_waitcnt lgkmcnt(0)
	v_lshlrev_b32_e32 v2, 16, v7
	v_lshlrev_b32_e32 v8, 16, v3
	v_pk_add_f32 v[2:3], v[2:3], v[8:9] op_sel_hi:[0,1]
	s_mov_b32 s4, 0x7f800000
	v_and_b32_e32 v3, 0x7f800000, v2
	v_cmp_ne_u32_e32 vcc, s4, v3
                                        ; implicit-def: $vgpr7
	s_and_saveexec_b64 s[4:5], vcc
	s_xor_b64 s[4:5], exec, s[4:5]
; %bb.8:
	v_bfe_u32 v3, v2, 16, 1
	s_movk_i32 s6, 0x7fff
	v_add3_u32 v7, v2, v3, s6
                                        ; implicit-def: $vgpr2_vgpr3
; %bb.9:
	s_andn2_saveexec_b64 s[4:5], s[4:5]
; %bb.10:
	v_mov_b32_e32 v3, 0
	v_or_b32_e32 v7, 0x10000, v2
	v_cmp_eq_u32_sdwa vcc, v2, v3 src0_sel:WORD_0 src1_sel:DWORD
	v_cndmask_b32_e32 v7, v7, v2, vcc
; %bb.11:
	s_or_b64 exec, exec, s[4:5]
	v_lshrrev_b32_e32 v3, 16, v7
	v_mov_b32_e32 v2, v3
.LBB214_12:
	s_or_b64 exec, exec, s[2:3]
	v_cmp_gt_u32_e32 vcc, 12, v5
	s_waitcnt lgkmcnt(0)
	v_cndmask_b32_e64 v7, 0, 1, vcc
	v_lshlrev_b32_e32 v7, 2, v7
	v_add_lshl_u32 v7, v7, v4, 2
	ds_bpermute_b32 v7, v7, v3
	v_add_u32_e32 v8, 4, v5
	v_cmp_le_u32_e32 vcc, v8, v6
	;; [unrolled: 39-line block ×3, first 2 shown]
	s_and_saveexec_b64 s[2:3], vcc
	s_cbranch_execz .LBB214_24
; %bb.19:
	s_waitcnt lgkmcnt(0)
	v_lshlrev_b32_e32 v2, 16, v4
	v_lshlrev_b32_e32 v4, 16, v3
	v_pk_add_f32 v[2:3], v[2:3], v[4:5] op_sel_hi:[0,1]
	s_mov_b32 s4, 0x7f800000
	v_and_b32_e32 v3, 0x7f800000, v2
	v_cmp_ne_u32_e32 vcc, s4, v3
                                        ; implicit-def: $vgpr4
	s_and_saveexec_b64 s[4:5], vcc
	s_xor_b64 s[4:5], exec, s[4:5]
; %bb.20:
	v_bfe_u32 v3, v2, 16, 1
	s_movk_i32 s6, 0x7fff
	v_add3_u32 v4, v2, v3, s6
                                        ; implicit-def: $vgpr2_vgpr3
; %bb.21:
	s_andn2_saveexec_b64 s[4:5], s[4:5]
; %bb.22:
	v_mov_b32_e32 v3, 0
	v_or_b32_e32 v4, 0x10000, v2
	v_cmp_eq_u32_sdwa vcc, v2, v3 src0_sel:WORD_0 src1_sel:DWORD
	v_cndmask_b32_e32 v4, v4, v2, vcc
; %bb.23:
	s_or_b64 exec, exec, s[4:5]
	v_lshrrev_b32_e32 v2, 16, v4
.LBB214_24:
	s_or_b64 exec, exec, s[2:3]
	v_mov_b32_e32 v3, s1
	v_add_co_u32_e32 v0, vcc, s0, v0
	v_addc_co_u32_e32 v1, vcc, v3, v1, vcc
	global_store_short v[0:1], v2, off
	s_endpgm
	.section	.rodata,"a",@progbits
	.p2align	6, 0x0
	.amdhsa_kernel _Z33tail_segmented_warp_reduce_kernelI12hip_bfloat16hLj64ELj16EENSt9enable_ifIXsr10test_utilsE35device_test_enabled_for_warp_size_vIXT2_EEEvE4typeEPT_PT0_S5_
		.amdhsa_group_segment_fixed_size 0
		.amdhsa_private_segment_fixed_size 0
		.amdhsa_kernarg_size 280
		.amdhsa_user_sgpr_count 6
		.amdhsa_user_sgpr_private_segment_buffer 1
		.amdhsa_user_sgpr_dispatch_ptr 0
		.amdhsa_user_sgpr_queue_ptr 0
		.amdhsa_user_sgpr_kernarg_segment_ptr 1
		.amdhsa_user_sgpr_dispatch_id 0
		.amdhsa_user_sgpr_flat_scratch_init 0
		.amdhsa_user_sgpr_kernarg_preload_length 0
		.amdhsa_user_sgpr_kernarg_preload_offset 0
		.amdhsa_user_sgpr_private_segment_size 0
		.amdhsa_uses_dynamic_stack 0
		.amdhsa_system_sgpr_private_segment_wavefront_offset 0
		.amdhsa_system_sgpr_workgroup_id_x 1
		.amdhsa_system_sgpr_workgroup_id_y 0
		.amdhsa_system_sgpr_workgroup_id_z 0
		.amdhsa_system_sgpr_workgroup_info 0
		.amdhsa_system_vgpr_workitem_id 0
		.amdhsa_next_free_vgpr 10
		.amdhsa_next_free_sgpr 12
		.amdhsa_accum_offset 12
		.amdhsa_reserve_vcc 1
		.amdhsa_reserve_flat_scratch 0
		.amdhsa_float_round_mode_32 0
		.amdhsa_float_round_mode_16_64 0
		.amdhsa_float_denorm_mode_32 3
		.amdhsa_float_denorm_mode_16_64 3
		.amdhsa_dx10_clamp 1
		.amdhsa_ieee_mode 1
		.amdhsa_fp16_overflow 0
		.amdhsa_tg_split 0
		.amdhsa_exception_fp_ieee_invalid_op 0
		.amdhsa_exception_fp_denorm_src 0
		.amdhsa_exception_fp_ieee_div_zero 0
		.amdhsa_exception_fp_ieee_overflow 0
		.amdhsa_exception_fp_ieee_underflow 0
		.amdhsa_exception_fp_ieee_inexact 0
		.amdhsa_exception_int_div_zero 0
	.end_amdhsa_kernel
	.section	.text._Z33tail_segmented_warp_reduce_kernelI12hip_bfloat16hLj64ELj16EENSt9enable_ifIXsr10test_utilsE35device_test_enabled_for_warp_size_vIXT2_EEEvE4typeEPT_PT0_S5_,"axG",@progbits,_Z33tail_segmented_warp_reduce_kernelI12hip_bfloat16hLj64ELj16EENSt9enable_ifIXsr10test_utilsE35device_test_enabled_for_warp_size_vIXT2_EEEvE4typeEPT_PT0_S5_,comdat
.Lfunc_end214:
	.size	_Z33tail_segmented_warp_reduce_kernelI12hip_bfloat16hLj64ELj16EENSt9enable_ifIXsr10test_utilsE35device_test_enabled_for_warp_size_vIXT2_EEEvE4typeEPT_PT0_S5_, .Lfunc_end214-_Z33tail_segmented_warp_reduce_kernelI12hip_bfloat16hLj64ELj16EENSt9enable_ifIXsr10test_utilsE35device_test_enabled_for_warp_size_vIXT2_EEEvE4typeEPT_PT0_S5_
                                        ; -- End function
	.section	.AMDGPU.csdata,"",@progbits
; Kernel info:
; codeLenInByte = 836
; NumSgprs: 16
; NumVgprs: 10
; NumAgprs: 0
; TotalNumVgprs: 10
; ScratchSize: 0
; MemoryBound: 0
; FloatMode: 240
; IeeeMode: 1
; LDSByteSize: 0 bytes/workgroup (compile time only)
; SGPRBlocks: 1
; VGPRBlocks: 1
; NumSGPRsForWavesPerEU: 16
; NumVGPRsForWavesPerEU: 10
; AccumOffset: 12
; Occupancy: 8
; WaveLimiterHint : 0
; COMPUTE_PGM_RSRC2:SCRATCH_EN: 0
; COMPUTE_PGM_RSRC2:USER_SGPR: 6
; COMPUTE_PGM_RSRC2:TRAP_HANDLER: 0
; COMPUTE_PGM_RSRC2:TGID_X_EN: 1
; COMPUTE_PGM_RSRC2:TGID_Y_EN: 0
; COMPUTE_PGM_RSRC2:TGID_Z_EN: 0
; COMPUTE_PGM_RSRC2:TIDIG_COMP_CNT: 0
; COMPUTE_PGM_RSRC3_GFX90A:ACCUM_OFFSET: 2
; COMPUTE_PGM_RSRC3_GFX90A:TG_SPLIT: 0
	.section	.text._Z33tail_segmented_warp_reduce_kernelI12hip_bfloat16hLj32ELj8EENSt9enable_ifIXsr10test_utilsE35device_test_enabled_for_warp_size_vIXT2_EEEvE4typeEPT_PT0_S5_,"axG",@progbits,_Z33tail_segmented_warp_reduce_kernelI12hip_bfloat16hLj32ELj8EENSt9enable_ifIXsr10test_utilsE35device_test_enabled_for_warp_size_vIXT2_EEEvE4typeEPT_PT0_S5_,comdat
	.protected	_Z33tail_segmented_warp_reduce_kernelI12hip_bfloat16hLj32ELj8EENSt9enable_ifIXsr10test_utilsE35device_test_enabled_for_warp_size_vIXT2_EEEvE4typeEPT_PT0_S5_ ; -- Begin function _Z33tail_segmented_warp_reduce_kernelI12hip_bfloat16hLj32ELj8EENSt9enable_ifIXsr10test_utilsE35device_test_enabled_for_warp_size_vIXT2_EEEvE4typeEPT_PT0_S5_
	.globl	_Z33tail_segmented_warp_reduce_kernelI12hip_bfloat16hLj32ELj8EENSt9enable_ifIXsr10test_utilsE35device_test_enabled_for_warp_size_vIXT2_EEEvE4typeEPT_PT0_S5_
	.p2align	8
	.type	_Z33tail_segmented_warp_reduce_kernelI12hip_bfloat16hLj32ELj8EENSt9enable_ifIXsr10test_utilsE35device_test_enabled_for_warp_size_vIXT2_EEEvE4typeEPT_PT0_S5_,@function
_Z33tail_segmented_warp_reduce_kernelI12hip_bfloat16hLj32ELj8EENSt9enable_ifIXsr10test_utilsE35device_test_enabled_for_warp_size_vIXT2_EEEvE4typeEPT_PT0_S5_: ; @_Z33tail_segmented_warp_reduce_kernelI12hip_bfloat16hLj32ELj8EENSt9enable_ifIXsr10test_utilsE35device_test_enabled_for_warp_size_vIXT2_EEEvE4typeEPT_PT0_S5_
; %bb.0:
	s_load_dword s2, s[4:5], 0x24
	s_load_dwordx4 s[8:11], s[4:5], 0x0
	s_load_dwordx2 s[0:1], s[4:5], 0x10
	v_mov_b32_e32 v3, 0
	s_waitcnt lgkmcnt(0)
	s_and_b32 s2, s2, 0xffff
	s_mul_i32 s6, s6, s2
	v_add_u32_e32 v2, s6, v0
	v_lshlrev_b64 v[0:1], 1, v[2:3]
	v_mov_b32_e32 v3, s9
	global_load_ubyte v8, v2, s[10:11]
	v_add_co_u32_e32 v2, vcc, s8, v0
	v_addc_co_u32_e32 v3, vcc, v3, v1, vcc
	global_load_ushort v2, v[2:3], off
	v_mbcnt_lo_u32_b32 v3, -1, 0
	v_mbcnt_hi_u32_b32 v4, -1, v3
	v_and_b32_e32 v5, 7, v4
	v_cmp_ne_u32_e32 vcc, 7, v5
	v_addc_co_u32_e32 v9, vcc, 0, v4, vcc
	v_lshlrev_b64 v[6:7], v4, -1
	v_and_b32_e32 v3, 0x78, v4
	v_lshlrev_b32_e32 v9, 2, v9
	s_waitcnt vmcnt(1)
	v_cmp_ne_u16_e32 vcc, 0, v8
	v_and_b32_e32 v7, vcc_hi, v7
	v_and_b32_e32 v6, vcc_lo, v6
	v_lshrrev_b64 v[6:7], v3, v[6:7]
	v_ffbl_b32_e32 v8, v7
	s_waitcnt vmcnt(0)
	v_and_b32_e32 v3, 0xffff, v2
	ds_bpermute_b32 v7, v9, v3
	v_or_b32_e32 v6, 0x80, v6
	v_add_u32_e32 v8, 32, v8
	v_ffbl_b32_e32 v6, v6
	v_min_u32_e32 v6, v6, v8
	v_cmp_lt_u32_e32 vcc, v5, v6
	s_and_saveexec_b64 s[2:3], vcc
	s_cbranch_execz .LBB215_6
; %bb.1:
	s_waitcnt lgkmcnt(0)
	v_lshlrev_b32_e32 v2, 16, v7
	v_lshlrev_b32_e32 v8, 16, v3
	v_pk_add_f32 v[2:3], v[2:3], v[8:9] op_sel_hi:[0,1]
	s_mov_b32 s4, 0x7f800000
	v_and_b32_e32 v3, 0x7f800000, v2
	v_cmp_ne_u32_e32 vcc, s4, v3
                                        ; implicit-def: $vgpr7
	s_and_saveexec_b64 s[4:5], vcc
	s_xor_b64 s[4:5], exec, s[4:5]
; %bb.2:
	v_bfe_u32 v3, v2, 16, 1
	s_movk_i32 s6, 0x7fff
	v_add3_u32 v7, v2, v3, s6
                                        ; implicit-def: $vgpr2_vgpr3
; %bb.3:
	s_andn2_saveexec_b64 s[4:5], s[4:5]
; %bb.4:
	v_mov_b32_e32 v3, 0
	v_or_b32_e32 v7, 0x10000, v2
	v_cmp_eq_u32_sdwa vcc, v2, v3 src0_sel:WORD_0 src1_sel:DWORD
	v_cndmask_b32_e32 v7, v7, v2, vcc
; %bb.5:
	s_or_b64 exec, exec, s[4:5]
	v_lshrrev_b32_e32 v3, 16, v7
	v_mov_b32_e32 v2, v3
.LBB215_6:
	s_or_b64 exec, exec, s[2:3]
	v_cmp_gt_u32_e32 vcc, 6, v5
	s_waitcnt lgkmcnt(0)
	v_cndmask_b32_e64 v7, 0, 1, vcc
	v_lshlrev_b32_e32 v7, 1, v7
	v_add_lshl_u32 v7, v7, v4, 2
	ds_bpermute_b32 v7, v7, v3
	v_add_u32_e32 v8, 2, v5
	v_cmp_le_u32_e32 vcc, v8, v6
	s_and_saveexec_b64 s[2:3], vcc
	s_cbranch_execz .LBB215_12
; %bb.7:
	s_waitcnt lgkmcnt(0)
	v_lshlrev_b32_e32 v2, 16, v7
	v_lshlrev_b32_e32 v8, 16, v3
	v_pk_add_f32 v[2:3], v[2:3], v[8:9] op_sel_hi:[0,1]
	s_mov_b32 s4, 0x7f800000
	v_and_b32_e32 v3, 0x7f800000, v2
	v_cmp_ne_u32_e32 vcc, s4, v3
                                        ; implicit-def: $vgpr7
	s_and_saveexec_b64 s[4:5], vcc
	s_xor_b64 s[4:5], exec, s[4:5]
; %bb.8:
	v_bfe_u32 v3, v2, 16, 1
	s_movk_i32 s6, 0x7fff
	v_add3_u32 v7, v2, v3, s6
                                        ; implicit-def: $vgpr2_vgpr3
; %bb.9:
	s_andn2_saveexec_b64 s[4:5], s[4:5]
; %bb.10:
	v_mov_b32_e32 v3, 0
	v_or_b32_e32 v7, 0x10000, v2
	v_cmp_eq_u32_sdwa vcc, v2, v3 src0_sel:WORD_0 src1_sel:DWORD
	v_cndmask_b32_e32 v7, v7, v2, vcc
; %bb.11:
	s_or_b64 exec, exec, s[4:5]
	v_lshrrev_b32_e32 v3, 16, v7
	v_mov_b32_e32 v2, v3
.LBB215_12:
	s_or_b64 exec, exec, s[2:3]
	v_cmp_gt_u32_e32 vcc, 4, v5
	s_waitcnt lgkmcnt(0)
	v_cndmask_b32_e64 v7, 0, 1, vcc
	v_lshlrev_b32_e32 v7, 2, v7
	v_add_lshl_u32 v4, v7, v4, 2
	ds_bpermute_b32 v4, v4, v3
	v_add_u32_e32 v5, 4, v5
	v_cmp_le_u32_e32 vcc, v5, v6
	s_and_saveexec_b64 s[2:3], vcc
	s_cbranch_execz .LBB215_18
; %bb.13:
	s_waitcnt lgkmcnt(0)
	v_lshlrev_b32_e32 v2, 16, v4
	v_lshlrev_b32_e32 v4, 16, v3
	v_pk_add_f32 v[2:3], v[2:3], v[4:5] op_sel_hi:[0,1]
	s_mov_b32 s4, 0x7f800000
	v_and_b32_e32 v3, 0x7f800000, v2
	v_cmp_ne_u32_e32 vcc, s4, v3
                                        ; implicit-def: $vgpr4
	s_and_saveexec_b64 s[4:5], vcc
	s_xor_b64 s[4:5], exec, s[4:5]
; %bb.14:
	v_bfe_u32 v3, v2, 16, 1
	s_movk_i32 s6, 0x7fff
	v_add3_u32 v4, v2, v3, s6
                                        ; implicit-def: $vgpr2_vgpr3
; %bb.15:
	s_andn2_saveexec_b64 s[4:5], s[4:5]
; %bb.16:
	v_mov_b32_e32 v3, 0
	v_or_b32_e32 v4, 0x10000, v2
	v_cmp_eq_u32_sdwa vcc, v2, v3 src0_sel:WORD_0 src1_sel:DWORD
	v_cndmask_b32_e32 v4, v4, v2, vcc
; %bb.17:
	s_or_b64 exec, exec, s[4:5]
	v_lshrrev_b32_e32 v2, 16, v4
.LBB215_18:
	s_or_b64 exec, exec, s[2:3]
	v_mov_b32_e32 v3, s1
	v_add_co_u32_e32 v0, vcc, s0, v0
	v_addc_co_u32_e32 v1, vcc, v3, v1, vcc
	global_store_short v[0:1], v2, off
	s_endpgm
	.section	.rodata,"a",@progbits
	.p2align	6, 0x0
	.amdhsa_kernel _Z33tail_segmented_warp_reduce_kernelI12hip_bfloat16hLj32ELj8EENSt9enable_ifIXsr10test_utilsE35device_test_enabled_for_warp_size_vIXT2_EEEvE4typeEPT_PT0_S5_
		.amdhsa_group_segment_fixed_size 0
		.amdhsa_private_segment_fixed_size 0
		.amdhsa_kernarg_size 280
		.amdhsa_user_sgpr_count 6
		.amdhsa_user_sgpr_private_segment_buffer 1
		.amdhsa_user_sgpr_dispatch_ptr 0
		.amdhsa_user_sgpr_queue_ptr 0
		.amdhsa_user_sgpr_kernarg_segment_ptr 1
		.amdhsa_user_sgpr_dispatch_id 0
		.amdhsa_user_sgpr_flat_scratch_init 0
		.amdhsa_user_sgpr_kernarg_preload_length 0
		.amdhsa_user_sgpr_kernarg_preload_offset 0
		.amdhsa_user_sgpr_private_segment_size 0
		.amdhsa_uses_dynamic_stack 0
		.amdhsa_system_sgpr_private_segment_wavefront_offset 0
		.amdhsa_system_sgpr_workgroup_id_x 1
		.amdhsa_system_sgpr_workgroup_id_y 0
		.amdhsa_system_sgpr_workgroup_id_z 0
		.amdhsa_system_sgpr_workgroup_info 0
		.amdhsa_system_vgpr_workitem_id 0
		.amdhsa_next_free_vgpr 10
		.amdhsa_next_free_sgpr 12
		.amdhsa_accum_offset 12
		.amdhsa_reserve_vcc 1
		.amdhsa_reserve_flat_scratch 0
		.amdhsa_float_round_mode_32 0
		.amdhsa_float_round_mode_16_64 0
		.amdhsa_float_denorm_mode_32 3
		.amdhsa_float_denorm_mode_16_64 3
		.amdhsa_dx10_clamp 1
		.amdhsa_ieee_mode 1
		.amdhsa_fp16_overflow 0
		.amdhsa_tg_split 0
		.amdhsa_exception_fp_ieee_invalid_op 0
		.amdhsa_exception_fp_denorm_src 0
		.amdhsa_exception_fp_ieee_div_zero 0
		.amdhsa_exception_fp_ieee_overflow 0
		.amdhsa_exception_fp_ieee_underflow 0
		.amdhsa_exception_fp_ieee_inexact 0
		.amdhsa_exception_int_div_zero 0
	.end_amdhsa_kernel
	.section	.text._Z33tail_segmented_warp_reduce_kernelI12hip_bfloat16hLj32ELj8EENSt9enable_ifIXsr10test_utilsE35device_test_enabled_for_warp_size_vIXT2_EEEvE4typeEPT_PT0_S5_,"axG",@progbits,_Z33tail_segmented_warp_reduce_kernelI12hip_bfloat16hLj32ELj8EENSt9enable_ifIXsr10test_utilsE35device_test_enabled_for_warp_size_vIXT2_EEEvE4typeEPT_PT0_S5_,comdat
.Lfunc_end215:
	.size	_Z33tail_segmented_warp_reduce_kernelI12hip_bfloat16hLj32ELj8EENSt9enable_ifIXsr10test_utilsE35device_test_enabled_for_warp_size_vIXT2_EEEvE4typeEPT_PT0_S5_, .Lfunc_end215-_Z33tail_segmented_warp_reduce_kernelI12hip_bfloat16hLj32ELj8EENSt9enable_ifIXsr10test_utilsE35device_test_enabled_for_warp_size_vIXT2_EEEvE4typeEPT_PT0_S5_
                                        ; -- End function
	.section	.AMDGPU.csdata,"",@progbits
; Kernel info:
; codeLenInByte = 672
; NumSgprs: 16
; NumVgprs: 10
; NumAgprs: 0
; TotalNumVgprs: 10
; ScratchSize: 0
; MemoryBound: 0
; FloatMode: 240
; IeeeMode: 1
; LDSByteSize: 0 bytes/workgroup (compile time only)
; SGPRBlocks: 1
; VGPRBlocks: 1
; NumSGPRsForWavesPerEU: 16
; NumVGPRsForWavesPerEU: 10
; AccumOffset: 12
; Occupancy: 8
; WaveLimiterHint : 0
; COMPUTE_PGM_RSRC2:SCRATCH_EN: 0
; COMPUTE_PGM_RSRC2:USER_SGPR: 6
; COMPUTE_PGM_RSRC2:TRAP_HANDLER: 0
; COMPUTE_PGM_RSRC2:TGID_X_EN: 1
; COMPUTE_PGM_RSRC2:TGID_Y_EN: 0
; COMPUTE_PGM_RSRC2:TGID_Z_EN: 0
; COMPUTE_PGM_RSRC2:TIDIG_COMP_CNT: 0
; COMPUTE_PGM_RSRC3_GFX90A:ACCUM_OFFSET: 2
; COMPUTE_PGM_RSRC3_GFX90A:TG_SPLIT: 0
	.section	.text._Z33tail_segmented_warp_reduce_kernelI12hip_bfloat16hLj64ELj8EENSt9enable_ifIXsr10test_utilsE35device_test_enabled_for_warp_size_vIXT2_EEEvE4typeEPT_PT0_S5_,"axG",@progbits,_Z33tail_segmented_warp_reduce_kernelI12hip_bfloat16hLj64ELj8EENSt9enable_ifIXsr10test_utilsE35device_test_enabled_for_warp_size_vIXT2_EEEvE4typeEPT_PT0_S5_,comdat
	.protected	_Z33tail_segmented_warp_reduce_kernelI12hip_bfloat16hLj64ELj8EENSt9enable_ifIXsr10test_utilsE35device_test_enabled_for_warp_size_vIXT2_EEEvE4typeEPT_PT0_S5_ ; -- Begin function _Z33tail_segmented_warp_reduce_kernelI12hip_bfloat16hLj64ELj8EENSt9enable_ifIXsr10test_utilsE35device_test_enabled_for_warp_size_vIXT2_EEEvE4typeEPT_PT0_S5_
	.globl	_Z33tail_segmented_warp_reduce_kernelI12hip_bfloat16hLj64ELj8EENSt9enable_ifIXsr10test_utilsE35device_test_enabled_for_warp_size_vIXT2_EEEvE4typeEPT_PT0_S5_
	.p2align	8
	.type	_Z33tail_segmented_warp_reduce_kernelI12hip_bfloat16hLj64ELj8EENSt9enable_ifIXsr10test_utilsE35device_test_enabled_for_warp_size_vIXT2_EEEvE4typeEPT_PT0_S5_,@function
_Z33tail_segmented_warp_reduce_kernelI12hip_bfloat16hLj64ELj8EENSt9enable_ifIXsr10test_utilsE35device_test_enabled_for_warp_size_vIXT2_EEEvE4typeEPT_PT0_S5_: ; @_Z33tail_segmented_warp_reduce_kernelI12hip_bfloat16hLj64ELj8EENSt9enable_ifIXsr10test_utilsE35device_test_enabled_for_warp_size_vIXT2_EEEvE4typeEPT_PT0_S5_
; %bb.0:
	s_load_dword s2, s[4:5], 0x24
	s_load_dwordx4 s[8:11], s[4:5], 0x0
	s_load_dwordx2 s[0:1], s[4:5], 0x10
	v_mov_b32_e32 v3, 0
	s_waitcnt lgkmcnt(0)
	s_and_b32 s2, s2, 0xffff
	s_mul_i32 s6, s6, s2
	v_add_u32_e32 v2, s6, v0
	v_lshlrev_b64 v[0:1], 1, v[2:3]
	v_mov_b32_e32 v3, s9
	global_load_ubyte v8, v2, s[10:11]
	v_add_co_u32_e32 v2, vcc, s8, v0
	v_addc_co_u32_e32 v3, vcc, v3, v1, vcc
	global_load_ushort v2, v[2:3], off
	v_mbcnt_lo_u32_b32 v3, -1, 0
	v_mbcnt_hi_u32_b32 v4, -1, v3
	v_and_b32_e32 v5, 7, v4
	v_cmp_ne_u32_e32 vcc, 7, v5
	v_addc_co_u32_e32 v9, vcc, 0, v4, vcc
	v_lshlrev_b64 v[6:7], v4, -1
	v_and_b32_e32 v3, 0x78, v4
	v_lshlrev_b32_e32 v9, 2, v9
	s_waitcnt vmcnt(1)
	v_cmp_ne_u16_e32 vcc, 0, v8
	v_and_b32_e32 v7, vcc_hi, v7
	v_and_b32_e32 v6, vcc_lo, v6
	v_lshrrev_b64 v[6:7], v3, v[6:7]
	v_ffbl_b32_e32 v8, v7
	s_waitcnt vmcnt(0)
	v_and_b32_e32 v3, 0xffff, v2
	ds_bpermute_b32 v7, v9, v3
	v_or_b32_e32 v6, 0x80, v6
	v_add_u32_e32 v8, 32, v8
	v_ffbl_b32_e32 v6, v6
	v_min_u32_e32 v6, v6, v8
	v_cmp_lt_u32_e32 vcc, v5, v6
	s_and_saveexec_b64 s[2:3], vcc
	s_cbranch_execz .LBB216_6
; %bb.1:
	s_waitcnt lgkmcnt(0)
	v_lshlrev_b32_e32 v2, 16, v7
	v_lshlrev_b32_e32 v8, 16, v3
	v_pk_add_f32 v[2:3], v[2:3], v[8:9] op_sel_hi:[0,1]
	s_mov_b32 s4, 0x7f800000
	v_and_b32_e32 v3, 0x7f800000, v2
	v_cmp_ne_u32_e32 vcc, s4, v3
                                        ; implicit-def: $vgpr7
	s_and_saveexec_b64 s[4:5], vcc
	s_xor_b64 s[4:5], exec, s[4:5]
; %bb.2:
	v_bfe_u32 v3, v2, 16, 1
	s_movk_i32 s6, 0x7fff
	v_add3_u32 v7, v2, v3, s6
                                        ; implicit-def: $vgpr2_vgpr3
; %bb.3:
	s_andn2_saveexec_b64 s[4:5], s[4:5]
; %bb.4:
	v_mov_b32_e32 v3, 0
	v_or_b32_e32 v7, 0x10000, v2
	v_cmp_eq_u32_sdwa vcc, v2, v3 src0_sel:WORD_0 src1_sel:DWORD
	v_cndmask_b32_e32 v7, v7, v2, vcc
; %bb.5:
	s_or_b64 exec, exec, s[4:5]
	v_lshrrev_b32_e32 v3, 16, v7
	v_mov_b32_e32 v2, v3
.LBB216_6:
	s_or_b64 exec, exec, s[2:3]
	v_cmp_gt_u32_e32 vcc, 6, v5
	s_waitcnt lgkmcnt(0)
	v_cndmask_b32_e64 v7, 0, 1, vcc
	v_lshlrev_b32_e32 v7, 1, v7
	v_add_lshl_u32 v7, v7, v4, 2
	ds_bpermute_b32 v7, v7, v3
	v_add_u32_e32 v8, 2, v5
	v_cmp_le_u32_e32 vcc, v8, v6
	s_and_saveexec_b64 s[2:3], vcc
	s_cbranch_execz .LBB216_12
; %bb.7:
	s_waitcnt lgkmcnt(0)
	v_lshlrev_b32_e32 v2, 16, v7
	v_lshlrev_b32_e32 v8, 16, v3
	v_pk_add_f32 v[2:3], v[2:3], v[8:9] op_sel_hi:[0,1]
	s_mov_b32 s4, 0x7f800000
	v_and_b32_e32 v3, 0x7f800000, v2
	v_cmp_ne_u32_e32 vcc, s4, v3
                                        ; implicit-def: $vgpr7
	s_and_saveexec_b64 s[4:5], vcc
	s_xor_b64 s[4:5], exec, s[4:5]
; %bb.8:
	v_bfe_u32 v3, v2, 16, 1
	s_movk_i32 s6, 0x7fff
	v_add3_u32 v7, v2, v3, s6
                                        ; implicit-def: $vgpr2_vgpr3
; %bb.9:
	s_andn2_saveexec_b64 s[4:5], s[4:5]
; %bb.10:
	v_mov_b32_e32 v3, 0
	v_or_b32_e32 v7, 0x10000, v2
	v_cmp_eq_u32_sdwa vcc, v2, v3 src0_sel:WORD_0 src1_sel:DWORD
	v_cndmask_b32_e32 v7, v7, v2, vcc
; %bb.11:
	s_or_b64 exec, exec, s[4:5]
	v_lshrrev_b32_e32 v3, 16, v7
	v_mov_b32_e32 v2, v3
.LBB216_12:
	s_or_b64 exec, exec, s[2:3]
	v_cmp_gt_u32_e32 vcc, 4, v5
	s_waitcnt lgkmcnt(0)
	v_cndmask_b32_e64 v7, 0, 1, vcc
	v_lshlrev_b32_e32 v7, 2, v7
	v_add_lshl_u32 v4, v7, v4, 2
	ds_bpermute_b32 v4, v4, v3
	v_add_u32_e32 v5, 4, v5
	v_cmp_le_u32_e32 vcc, v5, v6
	s_and_saveexec_b64 s[2:3], vcc
	s_cbranch_execz .LBB216_18
; %bb.13:
	s_waitcnt lgkmcnt(0)
	v_lshlrev_b32_e32 v2, 16, v4
	v_lshlrev_b32_e32 v4, 16, v3
	v_pk_add_f32 v[2:3], v[2:3], v[4:5] op_sel_hi:[0,1]
	s_mov_b32 s4, 0x7f800000
	v_and_b32_e32 v3, 0x7f800000, v2
	v_cmp_ne_u32_e32 vcc, s4, v3
                                        ; implicit-def: $vgpr4
	s_and_saveexec_b64 s[4:5], vcc
	s_xor_b64 s[4:5], exec, s[4:5]
; %bb.14:
	v_bfe_u32 v3, v2, 16, 1
	s_movk_i32 s6, 0x7fff
	v_add3_u32 v4, v2, v3, s6
                                        ; implicit-def: $vgpr2_vgpr3
; %bb.15:
	s_andn2_saveexec_b64 s[4:5], s[4:5]
; %bb.16:
	v_mov_b32_e32 v3, 0
	v_or_b32_e32 v4, 0x10000, v2
	v_cmp_eq_u32_sdwa vcc, v2, v3 src0_sel:WORD_0 src1_sel:DWORD
	v_cndmask_b32_e32 v4, v4, v2, vcc
; %bb.17:
	s_or_b64 exec, exec, s[4:5]
	v_lshrrev_b32_e32 v2, 16, v4
.LBB216_18:
	s_or_b64 exec, exec, s[2:3]
	v_mov_b32_e32 v3, s1
	v_add_co_u32_e32 v0, vcc, s0, v0
	v_addc_co_u32_e32 v1, vcc, v3, v1, vcc
	global_store_short v[0:1], v2, off
	s_endpgm
	.section	.rodata,"a",@progbits
	.p2align	6, 0x0
	.amdhsa_kernel _Z33tail_segmented_warp_reduce_kernelI12hip_bfloat16hLj64ELj8EENSt9enable_ifIXsr10test_utilsE35device_test_enabled_for_warp_size_vIXT2_EEEvE4typeEPT_PT0_S5_
		.amdhsa_group_segment_fixed_size 0
		.amdhsa_private_segment_fixed_size 0
		.amdhsa_kernarg_size 280
		.amdhsa_user_sgpr_count 6
		.amdhsa_user_sgpr_private_segment_buffer 1
		.amdhsa_user_sgpr_dispatch_ptr 0
		.amdhsa_user_sgpr_queue_ptr 0
		.amdhsa_user_sgpr_kernarg_segment_ptr 1
		.amdhsa_user_sgpr_dispatch_id 0
		.amdhsa_user_sgpr_flat_scratch_init 0
		.amdhsa_user_sgpr_kernarg_preload_length 0
		.amdhsa_user_sgpr_kernarg_preload_offset 0
		.amdhsa_user_sgpr_private_segment_size 0
		.amdhsa_uses_dynamic_stack 0
		.amdhsa_system_sgpr_private_segment_wavefront_offset 0
		.amdhsa_system_sgpr_workgroup_id_x 1
		.amdhsa_system_sgpr_workgroup_id_y 0
		.amdhsa_system_sgpr_workgroup_id_z 0
		.amdhsa_system_sgpr_workgroup_info 0
		.amdhsa_system_vgpr_workitem_id 0
		.amdhsa_next_free_vgpr 10
		.amdhsa_next_free_sgpr 12
		.amdhsa_accum_offset 12
		.amdhsa_reserve_vcc 1
		.amdhsa_reserve_flat_scratch 0
		.amdhsa_float_round_mode_32 0
		.amdhsa_float_round_mode_16_64 0
		.amdhsa_float_denorm_mode_32 3
		.amdhsa_float_denorm_mode_16_64 3
		.amdhsa_dx10_clamp 1
		.amdhsa_ieee_mode 1
		.amdhsa_fp16_overflow 0
		.amdhsa_tg_split 0
		.amdhsa_exception_fp_ieee_invalid_op 0
		.amdhsa_exception_fp_denorm_src 0
		.amdhsa_exception_fp_ieee_div_zero 0
		.amdhsa_exception_fp_ieee_overflow 0
		.amdhsa_exception_fp_ieee_underflow 0
		.amdhsa_exception_fp_ieee_inexact 0
		.amdhsa_exception_int_div_zero 0
	.end_amdhsa_kernel
	.section	.text._Z33tail_segmented_warp_reduce_kernelI12hip_bfloat16hLj64ELj8EENSt9enable_ifIXsr10test_utilsE35device_test_enabled_for_warp_size_vIXT2_EEEvE4typeEPT_PT0_S5_,"axG",@progbits,_Z33tail_segmented_warp_reduce_kernelI12hip_bfloat16hLj64ELj8EENSt9enable_ifIXsr10test_utilsE35device_test_enabled_for_warp_size_vIXT2_EEEvE4typeEPT_PT0_S5_,comdat
.Lfunc_end216:
	.size	_Z33tail_segmented_warp_reduce_kernelI12hip_bfloat16hLj64ELj8EENSt9enable_ifIXsr10test_utilsE35device_test_enabled_for_warp_size_vIXT2_EEEvE4typeEPT_PT0_S5_, .Lfunc_end216-_Z33tail_segmented_warp_reduce_kernelI12hip_bfloat16hLj64ELj8EENSt9enable_ifIXsr10test_utilsE35device_test_enabled_for_warp_size_vIXT2_EEEvE4typeEPT_PT0_S5_
                                        ; -- End function
	.section	.AMDGPU.csdata,"",@progbits
; Kernel info:
; codeLenInByte = 672
; NumSgprs: 16
; NumVgprs: 10
; NumAgprs: 0
; TotalNumVgprs: 10
; ScratchSize: 0
; MemoryBound: 0
; FloatMode: 240
; IeeeMode: 1
; LDSByteSize: 0 bytes/workgroup (compile time only)
; SGPRBlocks: 1
; VGPRBlocks: 1
; NumSGPRsForWavesPerEU: 16
; NumVGPRsForWavesPerEU: 10
; AccumOffset: 12
; Occupancy: 8
; WaveLimiterHint : 0
; COMPUTE_PGM_RSRC2:SCRATCH_EN: 0
; COMPUTE_PGM_RSRC2:USER_SGPR: 6
; COMPUTE_PGM_RSRC2:TRAP_HANDLER: 0
; COMPUTE_PGM_RSRC2:TGID_X_EN: 1
; COMPUTE_PGM_RSRC2:TGID_Y_EN: 0
; COMPUTE_PGM_RSRC2:TGID_Z_EN: 0
; COMPUTE_PGM_RSRC2:TIDIG_COMP_CNT: 0
; COMPUTE_PGM_RSRC3_GFX90A:ACCUM_OFFSET: 2
; COMPUTE_PGM_RSRC3_GFX90A:TG_SPLIT: 0
	.section	.text._Z33tail_segmented_warp_reduce_kernelI12hip_bfloat16hLj32ELj4EENSt9enable_ifIXsr10test_utilsE35device_test_enabled_for_warp_size_vIXT2_EEEvE4typeEPT_PT0_S5_,"axG",@progbits,_Z33tail_segmented_warp_reduce_kernelI12hip_bfloat16hLj32ELj4EENSt9enable_ifIXsr10test_utilsE35device_test_enabled_for_warp_size_vIXT2_EEEvE4typeEPT_PT0_S5_,comdat
	.protected	_Z33tail_segmented_warp_reduce_kernelI12hip_bfloat16hLj32ELj4EENSt9enable_ifIXsr10test_utilsE35device_test_enabled_for_warp_size_vIXT2_EEEvE4typeEPT_PT0_S5_ ; -- Begin function _Z33tail_segmented_warp_reduce_kernelI12hip_bfloat16hLj32ELj4EENSt9enable_ifIXsr10test_utilsE35device_test_enabled_for_warp_size_vIXT2_EEEvE4typeEPT_PT0_S5_
	.globl	_Z33tail_segmented_warp_reduce_kernelI12hip_bfloat16hLj32ELj4EENSt9enable_ifIXsr10test_utilsE35device_test_enabled_for_warp_size_vIXT2_EEEvE4typeEPT_PT0_S5_
	.p2align	8
	.type	_Z33tail_segmented_warp_reduce_kernelI12hip_bfloat16hLj32ELj4EENSt9enable_ifIXsr10test_utilsE35device_test_enabled_for_warp_size_vIXT2_EEEvE4typeEPT_PT0_S5_,@function
_Z33tail_segmented_warp_reduce_kernelI12hip_bfloat16hLj32ELj4EENSt9enable_ifIXsr10test_utilsE35device_test_enabled_for_warp_size_vIXT2_EEEvE4typeEPT_PT0_S5_: ; @_Z33tail_segmented_warp_reduce_kernelI12hip_bfloat16hLj32ELj4EENSt9enable_ifIXsr10test_utilsE35device_test_enabled_for_warp_size_vIXT2_EEEvE4typeEPT_PT0_S5_
; %bb.0:
	s_load_dword s2, s[4:5], 0x24
	s_load_dwordx4 s[8:11], s[4:5], 0x0
	s_load_dwordx2 s[0:1], s[4:5], 0x10
	v_mov_b32_e32 v3, 0
	s_waitcnt lgkmcnt(0)
	s_and_b32 s2, s2, 0xffff
	s_mul_i32 s6, s6, s2
	v_add_u32_e32 v2, s6, v0
	v_lshlrev_b64 v[0:1], 1, v[2:3]
	v_mov_b32_e32 v3, s9
	global_load_ubyte v8, v2, s[10:11]
	v_add_co_u32_e32 v2, vcc, s8, v0
	v_addc_co_u32_e32 v3, vcc, v3, v1, vcc
	global_load_ushort v2, v[2:3], off
	v_mbcnt_lo_u32_b32 v3, -1, 0
	v_mbcnt_hi_u32_b32 v4, -1, v3
	v_and_b32_e32 v5, 3, v4
	v_cmp_ne_u32_e32 vcc, 3, v5
	v_addc_co_u32_e32 v9, vcc, 0, v4, vcc
	v_lshlrev_b64 v[6:7], v4, -1
	v_and_b32_e32 v3, 0x7c, v4
	v_lshlrev_b32_e32 v9, 2, v9
	s_waitcnt vmcnt(1)
	v_cmp_ne_u16_e32 vcc, 0, v8
	v_and_b32_e32 v7, vcc_hi, v7
	v_and_b32_e32 v6, vcc_lo, v6
	v_lshrrev_b64 v[6:7], v3, v[6:7]
	v_ffbl_b32_e32 v8, v7
	s_waitcnt vmcnt(0)
	v_and_b32_e32 v3, 0xffff, v2
	ds_bpermute_b32 v7, v9, v3
	v_or_b32_e32 v6, 8, v6
	v_add_u32_e32 v8, 32, v8
	v_ffbl_b32_e32 v6, v6
	v_min_u32_e32 v6, v6, v8
	v_cmp_lt_u32_e32 vcc, v5, v6
	s_and_saveexec_b64 s[2:3], vcc
	s_cbranch_execz .LBB217_6
; %bb.1:
	s_waitcnt lgkmcnt(0)
	v_lshlrev_b32_e32 v2, 16, v7
	v_lshlrev_b32_e32 v8, 16, v3
	v_pk_add_f32 v[2:3], v[2:3], v[8:9] op_sel_hi:[0,1]
	s_mov_b32 s4, 0x7f800000
	v_and_b32_e32 v3, 0x7f800000, v2
	v_cmp_ne_u32_e32 vcc, s4, v3
                                        ; implicit-def: $vgpr7
	s_and_saveexec_b64 s[4:5], vcc
	s_xor_b64 s[4:5], exec, s[4:5]
; %bb.2:
	v_bfe_u32 v3, v2, 16, 1
	s_movk_i32 s6, 0x7fff
	v_add3_u32 v7, v2, v3, s6
                                        ; implicit-def: $vgpr2_vgpr3
; %bb.3:
	s_andn2_saveexec_b64 s[4:5], s[4:5]
; %bb.4:
	v_mov_b32_e32 v3, 0
	v_or_b32_e32 v7, 0x10000, v2
	v_cmp_eq_u32_sdwa vcc, v2, v3 src0_sel:WORD_0 src1_sel:DWORD
	v_cndmask_b32_e32 v7, v7, v2, vcc
; %bb.5:
	s_or_b64 exec, exec, s[4:5]
	v_lshrrev_b32_e32 v3, 16, v7
	v_mov_b32_e32 v2, v3
.LBB217_6:
	s_or_b64 exec, exec, s[2:3]
	v_cmp_gt_u32_e32 vcc, 2, v5
	s_waitcnt lgkmcnt(0)
	v_cndmask_b32_e64 v7, 0, 1, vcc
	v_lshlrev_b32_e32 v7, 1, v7
	v_add_lshl_u32 v4, v7, v4, 2
	ds_bpermute_b32 v4, v4, v3
	v_add_u32_e32 v5, 2, v5
	v_cmp_le_u32_e32 vcc, v5, v6
	s_and_saveexec_b64 s[2:3], vcc
	s_cbranch_execz .LBB217_12
; %bb.7:
	s_waitcnt lgkmcnt(0)
	v_lshlrev_b32_e32 v2, 16, v4
	v_lshlrev_b32_e32 v4, 16, v3
	v_pk_add_f32 v[2:3], v[2:3], v[4:5] op_sel_hi:[0,1]
	s_mov_b32 s4, 0x7f800000
	v_and_b32_e32 v3, 0x7f800000, v2
	v_cmp_ne_u32_e32 vcc, s4, v3
                                        ; implicit-def: $vgpr4
	s_and_saveexec_b64 s[4:5], vcc
	s_xor_b64 s[4:5], exec, s[4:5]
; %bb.8:
	v_bfe_u32 v3, v2, 16, 1
	s_movk_i32 s6, 0x7fff
	v_add3_u32 v4, v2, v3, s6
                                        ; implicit-def: $vgpr2_vgpr3
; %bb.9:
	s_andn2_saveexec_b64 s[4:5], s[4:5]
; %bb.10:
	v_mov_b32_e32 v3, 0
	v_or_b32_e32 v4, 0x10000, v2
	v_cmp_eq_u32_sdwa vcc, v2, v3 src0_sel:WORD_0 src1_sel:DWORD
	v_cndmask_b32_e32 v4, v4, v2, vcc
; %bb.11:
	s_or_b64 exec, exec, s[4:5]
	v_lshrrev_b32_e32 v2, 16, v4
.LBB217_12:
	s_or_b64 exec, exec, s[2:3]
	v_mov_b32_e32 v3, s1
	v_add_co_u32_e32 v0, vcc, s0, v0
	v_addc_co_u32_e32 v1, vcc, v3, v1, vcc
	global_store_short v[0:1], v2, off
	s_endpgm
	.section	.rodata,"a",@progbits
	.p2align	6, 0x0
	.amdhsa_kernel _Z33tail_segmented_warp_reduce_kernelI12hip_bfloat16hLj32ELj4EENSt9enable_ifIXsr10test_utilsE35device_test_enabled_for_warp_size_vIXT2_EEEvE4typeEPT_PT0_S5_
		.amdhsa_group_segment_fixed_size 0
		.amdhsa_private_segment_fixed_size 0
		.amdhsa_kernarg_size 280
		.amdhsa_user_sgpr_count 6
		.amdhsa_user_sgpr_private_segment_buffer 1
		.amdhsa_user_sgpr_dispatch_ptr 0
		.amdhsa_user_sgpr_queue_ptr 0
		.amdhsa_user_sgpr_kernarg_segment_ptr 1
		.amdhsa_user_sgpr_dispatch_id 0
		.amdhsa_user_sgpr_flat_scratch_init 0
		.amdhsa_user_sgpr_kernarg_preload_length 0
		.amdhsa_user_sgpr_kernarg_preload_offset 0
		.amdhsa_user_sgpr_private_segment_size 0
		.amdhsa_uses_dynamic_stack 0
		.amdhsa_system_sgpr_private_segment_wavefront_offset 0
		.amdhsa_system_sgpr_workgroup_id_x 1
		.amdhsa_system_sgpr_workgroup_id_y 0
		.amdhsa_system_sgpr_workgroup_id_z 0
		.amdhsa_system_sgpr_workgroup_info 0
		.amdhsa_system_vgpr_workitem_id 0
		.amdhsa_next_free_vgpr 10
		.amdhsa_next_free_sgpr 12
		.amdhsa_accum_offset 12
		.amdhsa_reserve_vcc 1
		.amdhsa_reserve_flat_scratch 0
		.amdhsa_float_round_mode_32 0
		.amdhsa_float_round_mode_16_64 0
		.amdhsa_float_denorm_mode_32 3
		.amdhsa_float_denorm_mode_16_64 3
		.amdhsa_dx10_clamp 1
		.amdhsa_ieee_mode 1
		.amdhsa_fp16_overflow 0
		.amdhsa_tg_split 0
		.amdhsa_exception_fp_ieee_invalid_op 0
		.amdhsa_exception_fp_denorm_src 0
		.amdhsa_exception_fp_ieee_div_zero 0
		.amdhsa_exception_fp_ieee_overflow 0
		.amdhsa_exception_fp_ieee_underflow 0
		.amdhsa_exception_fp_ieee_inexact 0
		.amdhsa_exception_int_div_zero 0
	.end_amdhsa_kernel
	.section	.text._Z33tail_segmented_warp_reduce_kernelI12hip_bfloat16hLj32ELj4EENSt9enable_ifIXsr10test_utilsE35device_test_enabled_for_warp_size_vIXT2_EEEvE4typeEPT_PT0_S5_,"axG",@progbits,_Z33tail_segmented_warp_reduce_kernelI12hip_bfloat16hLj32ELj4EENSt9enable_ifIXsr10test_utilsE35device_test_enabled_for_warp_size_vIXT2_EEEvE4typeEPT_PT0_S5_,comdat
.Lfunc_end217:
	.size	_Z33tail_segmented_warp_reduce_kernelI12hip_bfloat16hLj32ELj4EENSt9enable_ifIXsr10test_utilsE35device_test_enabled_for_warp_size_vIXT2_EEEvE4typeEPT_PT0_S5_, .Lfunc_end217-_Z33tail_segmented_warp_reduce_kernelI12hip_bfloat16hLj32ELj4EENSt9enable_ifIXsr10test_utilsE35device_test_enabled_for_warp_size_vIXT2_EEEvE4typeEPT_PT0_S5_
                                        ; -- End function
	.section	.AMDGPU.csdata,"",@progbits
; Kernel info:
; codeLenInByte = 504
; NumSgprs: 16
; NumVgprs: 10
; NumAgprs: 0
; TotalNumVgprs: 10
; ScratchSize: 0
; MemoryBound: 0
; FloatMode: 240
; IeeeMode: 1
; LDSByteSize: 0 bytes/workgroup (compile time only)
; SGPRBlocks: 1
; VGPRBlocks: 1
; NumSGPRsForWavesPerEU: 16
; NumVGPRsForWavesPerEU: 10
; AccumOffset: 12
; Occupancy: 8
; WaveLimiterHint : 0
; COMPUTE_PGM_RSRC2:SCRATCH_EN: 0
; COMPUTE_PGM_RSRC2:USER_SGPR: 6
; COMPUTE_PGM_RSRC2:TRAP_HANDLER: 0
; COMPUTE_PGM_RSRC2:TGID_X_EN: 1
; COMPUTE_PGM_RSRC2:TGID_Y_EN: 0
; COMPUTE_PGM_RSRC2:TGID_Z_EN: 0
; COMPUTE_PGM_RSRC2:TIDIG_COMP_CNT: 0
; COMPUTE_PGM_RSRC3_GFX90A:ACCUM_OFFSET: 2
; COMPUTE_PGM_RSRC3_GFX90A:TG_SPLIT: 0
	.section	.text._Z33tail_segmented_warp_reduce_kernelI12hip_bfloat16hLj64ELj4EENSt9enable_ifIXsr10test_utilsE35device_test_enabled_for_warp_size_vIXT2_EEEvE4typeEPT_PT0_S5_,"axG",@progbits,_Z33tail_segmented_warp_reduce_kernelI12hip_bfloat16hLj64ELj4EENSt9enable_ifIXsr10test_utilsE35device_test_enabled_for_warp_size_vIXT2_EEEvE4typeEPT_PT0_S5_,comdat
	.protected	_Z33tail_segmented_warp_reduce_kernelI12hip_bfloat16hLj64ELj4EENSt9enable_ifIXsr10test_utilsE35device_test_enabled_for_warp_size_vIXT2_EEEvE4typeEPT_PT0_S5_ ; -- Begin function _Z33tail_segmented_warp_reduce_kernelI12hip_bfloat16hLj64ELj4EENSt9enable_ifIXsr10test_utilsE35device_test_enabled_for_warp_size_vIXT2_EEEvE4typeEPT_PT0_S5_
	.globl	_Z33tail_segmented_warp_reduce_kernelI12hip_bfloat16hLj64ELj4EENSt9enable_ifIXsr10test_utilsE35device_test_enabled_for_warp_size_vIXT2_EEEvE4typeEPT_PT0_S5_
	.p2align	8
	.type	_Z33tail_segmented_warp_reduce_kernelI12hip_bfloat16hLj64ELj4EENSt9enable_ifIXsr10test_utilsE35device_test_enabled_for_warp_size_vIXT2_EEEvE4typeEPT_PT0_S5_,@function
_Z33tail_segmented_warp_reduce_kernelI12hip_bfloat16hLj64ELj4EENSt9enable_ifIXsr10test_utilsE35device_test_enabled_for_warp_size_vIXT2_EEEvE4typeEPT_PT0_S5_: ; @_Z33tail_segmented_warp_reduce_kernelI12hip_bfloat16hLj64ELj4EENSt9enable_ifIXsr10test_utilsE35device_test_enabled_for_warp_size_vIXT2_EEEvE4typeEPT_PT0_S5_
; %bb.0:
	s_load_dword s2, s[4:5], 0x24
	s_load_dwordx4 s[8:11], s[4:5], 0x0
	s_load_dwordx2 s[0:1], s[4:5], 0x10
	v_mov_b32_e32 v3, 0
	s_waitcnt lgkmcnt(0)
	s_and_b32 s2, s2, 0xffff
	s_mul_i32 s6, s6, s2
	v_add_u32_e32 v2, s6, v0
	v_lshlrev_b64 v[0:1], 1, v[2:3]
	v_mov_b32_e32 v3, s9
	global_load_ubyte v8, v2, s[10:11]
	v_add_co_u32_e32 v2, vcc, s8, v0
	v_addc_co_u32_e32 v3, vcc, v3, v1, vcc
	global_load_ushort v2, v[2:3], off
	v_mbcnt_lo_u32_b32 v3, -1, 0
	v_mbcnt_hi_u32_b32 v4, -1, v3
	v_and_b32_e32 v5, 3, v4
	v_cmp_ne_u32_e32 vcc, 3, v5
	v_addc_co_u32_e32 v9, vcc, 0, v4, vcc
	v_lshlrev_b64 v[6:7], v4, -1
	v_and_b32_e32 v3, 0x7c, v4
	v_lshlrev_b32_e32 v9, 2, v9
	s_waitcnt vmcnt(1)
	v_cmp_ne_u16_e32 vcc, 0, v8
	v_and_b32_e32 v7, vcc_hi, v7
	v_and_b32_e32 v6, vcc_lo, v6
	v_lshrrev_b64 v[6:7], v3, v[6:7]
	v_ffbl_b32_e32 v8, v7
	s_waitcnt vmcnt(0)
	v_and_b32_e32 v3, 0xffff, v2
	ds_bpermute_b32 v7, v9, v3
	v_or_b32_e32 v6, 8, v6
	v_add_u32_e32 v8, 32, v8
	v_ffbl_b32_e32 v6, v6
	v_min_u32_e32 v6, v6, v8
	v_cmp_lt_u32_e32 vcc, v5, v6
	s_and_saveexec_b64 s[2:3], vcc
	s_cbranch_execz .LBB218_6
; %bb.1:
	s_waitcnt lgkmcnt(0)
	v_lshlrev_b32_e32 v2, 16, v7
	v_lshlrev_b32_e32 v8, 16, v3
	v_pk_add_f32 v[2:3], v[2:3], v[8:9] op_sel_hi:[0,1]
	s_mov_b32 s4, 0x7f800000
	v_and_b32_e32 v3, 0x7f800000, v2
	v_cmp_ne_u32_e32 vcc, s4, v3
                                        ; implicit-def: $vgpr7
	s_and_saveexec_b64 s[4:5], vcc
	s_xor_b64 s[4:5], exec, s[4:5]
; %bb.2:
	v_bfe_u32 v3, v2, 16, 1
	s_movk_i32 s6, 0x7fff
	v_add3_u32 v7, v2, v3, s6
                                        ; implicit-def: $vgpr2_vgpr3
; %bb.3:
	s_andn2_saveexec_b64 s[4:5], s[4:5]
; %bb.4:
	v_mov_b32_e32 v3, 0
	v_or_b32_e32 v7, 0x10000, v2
	v_cmp_eq_u32_sdwa vcc, v2, v3 src0_sel:WORD_0 src1_sel:DWORD
	v_cndmask_b32_e32 v7, v7, v2, vcc
; %bb.5:
	s_or_b64 exec, exec, s[4:5]
	v_lshrrev_b32_e32 v3, 16, v7
	v_mov_b32_e32 v2, v3
.LBB218_6:
	s_or_b64 exec, exec, s[2:3]
	v_cmp_gt_u32_e32 vcc, 2, v5
	s_waitcnt lgkmcnt(0)
	v_cndmask_b32_e64 v7, 0, 1, vcc
	v_lshlrev_b32_e32 v7, 1, v7
	v_add_lshl_u32 v4, v7, v4, 2
	ds_bpermute_b32 v4, v4, v3
	v_add_u32_e32 v5, 2, v5
	v_cmp_le_u32_e32 vcc, v5, v6
	s_and_saveexec_b64 s[2:3], vcc
	s_cbranch_execz .LBB218_12
; %bb.7:
	s_waitcnt lgkmcnt(0)
	v_lshlrev_b32_e32 v2, 16, v4
	v_lshlrev_b32_e32 v4, 16, v3
	v_pk_add_f32 v[2:3], v[2:3], v[4:5] op_sel_hi:[0,1]
	s_mov_b32 s4, 0x7f800000
	v_and_b32_e32 v3, 0x7f800000, v2
	v_cmp_ne_u32_e32 vcc, s4, v3
                                        ; implicit-def: $vgpr4
	s_and_saveexec_b64 s[4:5], vcc
	s_xor_b64 s[4:5], exec, s[4:5]
; %bb.8:
	v_bfe_u32 v3, v2, 16, 1
	s_movk_i32 s6, 0x7fff
	v_add3_u32 v4, v2, v3, s6
                                        ; implicit-def: $vgpr2_vgpr3
; %bb.9:
	s_andn2_saveexec_b64 s[4:5], s[4:5]
; %bb.10:
	v_mov_b32_e32 v3, 0
	v_or_b32_e32 v4, 0x10000, v2
	v_cmp_eq_u32_sdwa vcc, v2, v3 src0_sel:WORD_0 src1_sel:DWORD
	v_cndmask_b32_e32 v4, v4, v2, vcc
; %bb.11:
	s_or_b64 exec, exec, s[4:5]
	v_lshrrev_b32_e32 v2, 16, v4
.LBB218_12:
	s_or_b64 exec, exec, s[2:3]
	v_mov_b32_e32 v3, s1
	v_add_co_u32_e32 v0, vcc, s0, v0
	v_addc_co_u32_e32 v1, vcc, v3, v1, vcc
	global_store_short v[0:1], v2, off
	s_endpgm
	.section	.rodata,"a",@progbits
	.p2align	6, 0x0
	.amdhsa_kernel _Z33tail_segmented_warp_reduce_kernelI12hip_bfloat16hLj64ELj4EENSt9enable_ifIXsr10test_utilsE35device_test_enabled_for_warp_size_vIXT2_EEEvE4typeEPT_PT0_S5_
		.amdhsa_group_segment_fixed_size 0
		.amdhsa_private_segment_fixed_size 0
		.amdhsa_kernarg_size 280
		.amdhsa_user_sgpr_count 6
		.amdhsa_user_sgpr_private_segment_buffer 1
		.amdhsa_user_sgpr_dispatch_ptr 0
		.amdhsa_user_sgpr_queue_ptr 0
		.amdhsa_user_sgpr_kernarg_segment_ptr 1
		.amdhsa_user_sgpr_dispatch_id 0
		.amdhsa_user_sgpr_flat_scratch_init 0
		.amdhsa_user_sgpr_kernarg_preload_length 0
		.amdhsa_user_sgpr_kernarg_preload_offset 0
		.amdhsa_user_sgpr_private_segment_size 0
		.amdhsa_uses_dynamic_stack 0
		.amdhsa_system_sgpr_private_segment_wavefront_offset 0
		.amdhsa_system_sgpr_workgroup_id_x 1
		.amdhsa_system_sgpr_workgroup_id_y 0
		.amdhsa_system_sgpr_workgroup_id_z 0
		.amdhsa_system_sgpr_workgroup_info 0
		.amdhsa_system_vgpr_workitem_id 0
		.amdhsa_next_free_vgpr 10
		.amdhsa_next_free_sgpr 12
		.amdhsa_accum_offset 12
		.amdhsa_reserve_vcc 1
		.amdhsa_reserve_flat_scratch 0
		.amdhsa_float_round_mode_32 0
		.amdhsa_float_round_mode_16_64 0
		.amdhsa_float_denorm_mode_32 3
		.amdhsa_float_denorm_mode_16_64 3
		.amdhsa_dx10_clamp 1
		.amdhsa_ieee_mode 1
		.amdhsa_fp16_overflow 0
		.amdhsa_tg_split 0
		.amdhsa_exception_fp_ieee_invalid_op 0
		.amdhsa_exception_fp_denorm_src 0
		.amdhsa_exception_fp_ieee_div_zero 0
		.amdhsa_exception_fp_ieee_overflow 0
		.amdhsa_exception_fp_ieee_underflow 0
		.amdhsa_exception_fp_ieee_inexact 0
		.amdhsa_exception_int_div_zero 0
	.end_amdhsa_kernel
	.section	.text._Z33tail_segmented_warp_reduce_kernelI12hip_bfloat16hLj64ELj4EENSt9enable_ifIXsr10test_utilsE35device_test_enabled_for_warp_size_vIXT2_EEEvE4typeEPT_PT0_S5_,"axG",@progbits,_Z33tail_segmented_warp_reduce_kernelI12hip_bfloat16hLj64ELj4EENSt9enable_ifIXsr10test_utilsE35device_test_enabled_for_warp_size_vIXT2_EEEvE4typeEPT_PT0_S5_,comdat
.Lfunc_end218:
	.size	_Z33tail_segmented_warp_reduce_kernelI12hip_bfloat16hLj64ELj4EENSt9enable_ifIXsr10test_utilsE35device_test_enabled_for_warp_size_vIXT2_EEEvE4typeEPT_PT0_S5_, .Lfunc_end218-_Z33tail_segmented_warp_reduce_kernelI12hip_bfloat16hLj64ELj4EENSt9enable_ifIXsr10test_utilsE35device_test_enabled_for_warp_size_vIXT2_EEEvE4typeEPT_PT0_S5_
                                        ; -- End function
	.section	.AMDGPU.csdata,"",@progbits
; Kernel info:
; codeLenInByte = 504
; NumSgprs: 16
; NumVgprs: 10
; NumAgprs: 0
; TotalNumVgprs: 10
; ScratchSize: 0
; MemoryBound: 0
; FloatMode: 240
; IeeeMode: 1
; LDSByteSize: 0 bytes/workgroup (compile time only)
; SGPRBlocks: 1
; VGPRBlocks: 1
; NumSGPRsForWavesPerEU: 16
; NumVGPRsForWavesPerEU: 10
; AccumOffset: 12
; Occupancy: 8
; WaveLimiterHint : 0
; COMPUTE_PGM_RSRC2:SCRATCH_EN: 0
; COMPUTE_PGM_RSRC2:USER_SGPR: 6
; COMPUTE_PGM_RSRC2:TRAP_HANDLER: 0
; COMPUTE_PGM_RSRC2:TGID_X_EN: 1
; COMPUTE_PGM_RSRC2:TGID_Y_EN: 0
; COMPUTE_PGM_RSRC2:TGID_Z_EN: 0
; COMPUTE_PGM_RSRC2:TIDIG_COMP_CNT: 0
; COMPUTE_PGM_RSRC3_GFX90A:ACCUM_OFFSET: 2
; COMPUTE_PGM_RSRC3_GFX90A:TG_SPLIT: 0
	.section	.text._Z33tail_segmented_warp_reduce_kernelI12hip_bfloat16hLj32ELj2EENSt9enable_ifIXsr10test_utilsE35device_test_enabled_for_warp_size_vIXT2_EEEvE4typeEPT_PT0_S5_,"axG",@progbits,_Z33tail_segmented_warp_reduce_kernelI12hip_bfloat16hLj32ELj2EENSt9enable_ifIXsr10test_utilsE35device_test_enabled_for_warp_size_vIXT2_EEEvE4typeEPT_PT0_S5_,comdat
	.protected	_Z33tail_segmented_warp_reduce_kernelI12hip_bfloat16hLj32ELj2EENSt9enable_ifIXsr10test_utilsE35device_test_enabled_for_warp_size_vIXT2_EEEvE4typeEPT_PT0_S5_ ; -- Begin function _Z33tail_segmented_warp_reduce_kernelI12hip_bfloat16hLj32ELj2EENSt9enable_ifIXsr10test_utilsE35device_test_enabled_for_warp_size_vIXT2_EEEvE4typeEPT_PT0_S5_
	.globl	_Z33tail_segmented_warp_reduce_kernelI12hip_bfloat16hLj32ELj2EENSt9enable_ifIXsr10test_utilsE35device_test_enabled_for_warp_size_vIXT2_EEEvE4typeEPT_PT0_S5_
	.p2align	8
	.type	_Z33tail_segmented_warp_reduce_kernelI12hip_bfloat16hLj32ELj2EENSt9enable_ifIXsr10test_utilsE35device_test_enabled_for_warp_size_vIXT2_EEEvE4typeEPT_PT0_S5_,@function
_Z33tail_segmented_warp_reduce_kernelI12hip_bfloat16hLj32ELj2EENSt9enable_ifIXsr10test_utilsE35device_test_enabled_for_warp_size_vIXT2_EEEvE4typeEPT_PT0_S5_: ; @_Z33tail_segmented_warp_reduce_kernelI12hip_bfloat16hLj32ELj2EENSt9enable_ifIXsr10test_utilsE35device_test_enabled_for_warp_size_vIXT2_EEEvE4typeEPT_PT0_S5_
; %bb.0:
	s_load_dword s2, s[4:5], 0x24
	s_load_dwordx4 s[8:11], s[4:5], 0x0
	s_load_dwordx2 s[0:1], s[4:5], 0x10
	v_mov_b32_e32 v3, 0
	s_waitcnt lgkmcnt(0)
	s_and_b32 s2, s2, 0xffff
	s_mul_i32 s6, s6, s2
	v_add_u32_e32 v2, s6, v0
	v_lshlrev_b64 v[0:1], 1, v[2:3]
	v_mov_b32_e32 v3, s9
	global_load_ubyte v6, v2, s[10:11]
	v_add_co_u32_e32 v2, vcc, s8, v0
	v_addc_co_u32_e32 v3, vcc, v3, v1, vcc
	global_load_ushort v2, v[2:3], off
	v_mbcnt_lo_u32_b32 v3, -1, 0
	v_mbcnt_hi_u32_b32 v7, -1, v3
	v_lshlrev_b64 v[4:5], v7, -1
	v_and_b32_e32 v3, 0x7e, v7
	v_lshl_or_b32 v8, v7, 2, 4
	s_waitcnt vmcnt(1)
	v_cmp_ne_u16_e32 vcc, 0, v6
	v_and_b32_e32 v5, vcc_hi, v5
	v_and_b32_e32 v4, vcc_lo, v4
	v_lshrrev_b64 v[4:5], v3, v[4:5]
	v_or_b32_e32 v6, 2, v4
	s_waitcnt vmcnt(0)
	v_and_b32_e32 v3, 0xffff, v2
	ds_bpermute_b32 v4, v8, v3
	v_ffbl_b32_e32 v5, v5
	v_add_u32_e32 v5, 32, v5
	v_ffbl_b32_e32 v6, v6
	v_min_u32_e32 v5, v6, v5
	v_and_b32_e32 v6, 1, v7
	v_cmp_lt_u32_e32 vcc, v6, v5
	s_and_saveexec_b64 s[2:3], vcc
	s_cbranch_execz .LBB219_6
; %bb.1:
	s_waitcnt lgkmcnt(0)
	v_lshlrev_b32_e32 v2, 16, v4
	v_lshlrev_b32_e32 v4, 16, v3
	v_pk_add_f32 v[2:3], v[2:3], v[4:5] op_sel_hi:[0,1]
	s_mov_b32 s4, 0x7f800000
	v_and_b32_e32 v3, 0x7f800000, v2
	v_cmp_ne_u32_e32 vcc, s4, v3
                                        ; implicit-def: $vgpr4
	s_and_saveexec_b64 s[4:5], vcc
	s_xor_b64 s[4:5], exec, s[4:5]
; %bb.2:
	v_bfe_u32 v3, v2, 16, 1
	s_movk_i32 s6, 0x7fff
	v_add3_u32 v4, v2, v3, s6
                                        ; implicit-def: $vgpr2_vgpr3
; %bb.3:
	s_andn2_saveexec_b64 s[4:5], s[4:5]
; %bb.4:
	v_mov_b32_e32 v3, 0
	v_or_b32_e32 v4, 0x10000, v2
	v_cmp_eq_u32_sdwa vcc, v2, v3 src0_sel:WORD_0 src1_sel:DWORD
	v_cndmask_b32_e32 v4, v4, v2, vcc
; %bb.5:
	s_or_b64 exec, exec, s[4:5]
	v_lshrrev_b32_e32 v2, 16, v4
.LBB219_6:
	s_or_b64 exec, exec, s[2:3]
	v_mov_b32_e32 v3, s1
	v_add_co_u32_e32 v0, vcc, s0, v0
	v_addc_co_u32_e32 v1, vcc, v3, v1, vcc
	global_store_short v[0:1], v2, off
	s_endpgm
	.section	.rodata,"a",@progbits
	.p2align	6, 0x0
	.amdhsa_kernel _Z33tail_segmented_warp_reduce_kernelI12hip_bfloat16hLj32ELj2EENSt9enable_ifIXsr10test_utilsE35device_test_enabled_for_warp_size_vIXT2_EEEvE4typeEPT_PT0_S5_
		.amdhsa_group_segment_fixed_size 0
		.amdhsa_private_segment_fixed_size 0
		.amdhsa_kernarg_size 280
		.amdhsa_user_sgpr_count 6
		.amdhsa_user_sgpr_private_segment_buffer 1
		.amdhsa_user_sgpr_dispatch_ptr 0
		.amdhsa_user_sgpr_queue_ptr 0
		.amdhsa_user_sgpr_kernarg_segment_ptr 1
		.amdhsa_user_sgpr_dispatch_id 0
		.amdhsa_user_sgpr_flat_scratch_init 0
		.amdhsa_user_sgpr_kernarg_preload_length 0
		.amdhsa_user_sgpr_kernarg_preload_offset 0
		.amdhsa_user_sgpr_private_segment_size 0
		.amdhsa_uses_dynamic_stack 0
		.amdhsa_system_sgpr_private_segment_wavefront_offset 0
		.amdhsa_system_sgpr_workgroup_id_x 1
		.amdhsa_system_sgpr_workgroup_id_y 0
		.amdhsa_system_sgpr_workgroup_id_z 0
		.amdhsa_system_sgpr_workgroup_info 0
		.amdhsa_system_vgpr_workitem_id 0
		.amdhsa_next_free_vgpr 9
		.amdhsa_next_free_sgpr 12
		.amdhsa_accum_offset 12
		.amdhsa_reserve_vcc 1
		.amdhsa_reserve_flat_scratch 0
		.amdhsa_float_round_mode_32 0
		.amdhsa_float_round_mode_16_64 0
		.amdhsa_float_denorm_mode_32 3
		.amdhsa_float_denorm_mode_16_64 3
		.amdhsa_dx10_clamp 1
		.amdhsa_ieee_mode 1
		.amdhsa_fp16_overflow 0
		.amdhsa_tg_split 0
		.amdhsa_exception_fp_ieee_invalid_op 0
		.amdhsa_exception_fp_denorm_src 0
		.amdhsa_exception_fp_ieee_div_zero 0
		.amdhsa_exception_fp_ieee_overflow 0
		.amdhsa_exception_fp_ieee_underflow 0
		.amdhsa_exception_fp_ieee_inexact 0
		.amdhsa_exception_int_div_zero 0
	.end_amdhsa_kernel
	.section	.text._Z33tail_segmented_warp_reduce_kernelI12hip_bfloat16hLj32ELj2EENSt9enable_ifIXsr10test_utilsE35device_test_enabled_for_warp_size_vIXT2_EEEvE4typeEPT_PT0_S5_,"axG",@progbits,_Z33tail_segmented_warp_reduce_kernelI12hip_bfloat16hLj32ELj2EENSt9enable_ifIXsr10test_utilsE35device_test_enabled_for_warp_size_vIXT2_EEEvE4typeEPT_PT0_S5_,comdat
.Lfunc_end219:
	.size	_Z33tail_segmented_warp_reduce_kernelI12hip_bfloat16hLj32ELj2EENSt9enable_ifIXsr10test_utilsE35device_test_enabled_for_warp_size_vIXT2_EEEvE4typeEPT_PT0_S5_, .Lfunc_end219-_Z33tail_segmented_warp_reduce_kernelI12hip_bfloat16hLj32ELj2EENSt9enable_ifIXsr10test_utilsE35device_test_enabled_for_warp_size_vIXT2_EEEvE4typeEPT_PT0_S5_
                                        ; -- End function
	.section	.AMDGPU.csdata,"",@progbits
; Kernel info:
; codeLenInByte = 336
; NumSgprs: 16
; NumVgprs: 9
; NumAgprs: 0
; TotalNumVgprs: 9
; ScratchSize: 0
; MemoryBound: 0
; FloatMode: 240
; IeeeMode: 1
; LDSByteSize: 0 bytes/workgroup (compile time only)
; SGPRBlocks: 1
; VGPRBlocks: 1
; NumSGPRsForWavesPerEU: 16
; NumVGPRsForWavesPerEU: 9
; AccumOffset: 12
; Occupancy: 8
; WaveLimiterHint : 0
; COMPUTE_PGM_RSRC2:SCRATCH_EN: 0
; COMPUTE_PGM_RSRC2:USER_SGPR: 6
; COMPUTE_PGM_RSRC2:TRAP_HANDLER: 0
; COMPUTE_PGM_RSRC2:TGID_X_EN: 1
; COMPUTE_PGM_RSRC2:TGID_Y_EN: 0
; COMPUTE_PGM_RSRC2:TGID_Z_EN: 0
; COMPUTE_PGM_RSRC2:TIDIG_COMP_CNT: 0
; COMPUTE_PGM_RSRC3_GFX90A:ACCUM_OFFSET: 2
; COMPUTE_PGM_RSRC3_GFX90A:TG_SPLIT: 0
	.section	.text._Z33tail_segmented_warp_reduce_kernelI12hip_bfloat16hLj64ELj2EENSt9enable_ifIXsr10test_utilsE35device_test_enabled_for_warp_size_vIXT2_EEEvE4typeEPT_PT0_S5_,"axG",@progbits,_Z33tail_segmented_warp_reduce_kernelI12hip_bfloat16hLj64ELj2EENSt9enable_ifIXsr10test_utilsE35device_test_enabled_for_warp_size_vIXT2_EEEvE4typeEPT_PT0_S5_,comdat
	.protected	_Z33tail_segmented_warp_reduce_kernelI12hip_bfloat16hLj64ELj2EENSt9enable_ifIXsr10test_utilsE35device_test_enabled_for_warp_size_vIXT2_EEEvE4typeEPT_PT0_S5_ ; -- Begin function _Z33tail_segmented_warp_reduce_kernelI12hip_bfloat16hLj64ELj2EENSt9enable_ifIXsr10test_utilsE35device_test_enabled_for_warp_size_vIXT2_EEEvE4typeEPT_PT0_S5_
	.globl	_Z33tail_segmented_warp_reduce_kernelI12hip_bfloat16hLj64ELj2EENSt9enable_ifIXsr10test_utilsE35device_test_enabled_for_warp_size_vIXT2_EEEvE4typeEPT_PT0_S5_
	.p2align	8
	.type	_Z33tail_segmented_warp_reduce_kernelI12hip_bfloat16hLj64ELj2EENSt9enable_ifIXsr10test_utilsE35device_test_enabled_for_warp_size_vIXT2_EEEvE4typeEPT_PT0_S5_,@function
_Z33tail_segmented_warp_reduce_kernelI12hip_bfloat16hLj64ELj2EENSt9enable_ifIXsr10test_utilsE35device_test_enabled_for_warp_size_vIXT2_EEEvE4typeEPT_PT0_S5_: ; @_Z33tail_segmented_warp_reduce_kernelI12hip_bfloat16hLj64ELj2EENSt9enable_ifIXsr10test_utilsE35device_test_enabled_for_warp_size_vIXT2_EEEvE4typeEPT_PT0_S5_
; %bb.0:
	s_load_dword s2, s[4:5], 0x24
	s_load_dwordx4 s[8:11], s[4:5], 0x0
	s_load_dwordx2 s[0:1], s[4:5], 0x10
	v_mov_b32_e32 v3, 0
	s_waitcnt lgkmcnt(0)
	s_and_b32 s2, s2, 0xffff
	s_mul_i32 s6, s6, s2
	v_add_u32_e32 v2, s6, v0
	v_lshlrev_b64 v[0:1], 1, v[2:3]
	v_mov_b32_e32 v3, s9
	global_load_ubyte v6, v2, s[10:11]
	v_add_co_u32_e32 v2, vcc, s8, v0
	v_addc_co_u32_e32 v3, vcc, v3, v1, vcc
	global_load_ushort v2, v[2:3], off
	v_mbcnt_lo_u32_b32 v3, -1, 0
	v_mbcnt_hi_u32_b32 v7, -1, v3
	v_lshlrev_b64 v[4:5], v7, -1
	v_and_b32_e32 v3, 0x7e, v7
	v_lshl_or_b32 v8, v7, 2, 4
	s_waitcnt vmcnt(1)
	v_cmp_ne_u16_e32 vcc, 0, v6
	v_and_b32_e32 v5, vcc_hi, v5
	v_and_b32_e32 v4, vcc_lo, v4
	v_lshrrev_b64 v[4:5], v3, v[4:5]
	v_or_b32_e32 v6, 2, v4
	s_waitcnt vmcnt(0)
	v_and_b32_e32 v3, 0xffff, v2
	ds_bpermute_b32 v4, v8, v3
	v_ffbl_b32_e32 v5, v5
	v_add_u32_e32 v5, 32, v5
	v_ffbl_b32_e32 v6, v6
	v_min_u32_e32 v5, v6, v5
	v_and_b32_e32 v6, 1, v7
	v_cmp_lt_u32_e32 vcc, v6, v5
	s_and_saveexec_b64 s[2:3], vcc
	s_cbranch_execz .LBB220_6
; %bb.1:
	s_waitcnt lgkmcnt(0)
	v_lshlrev_b32_e32 v2, 16, v4
	v_lshlrev_b32_e32 v4, 16, v3
	v_pk_add_f32 v[2:3], v[2:3], v[4:5] op_sel_hi:[0,1]
	s_mov_b32 s4, 0x7f800000
	v_and_b32_e32 v3, 0x7f800000, v2
	v_cmp_ne_u32_e32 vcc, s4, v3
                                        ; implicit-def: $vgpr4
	s_and_saveexec_b64 s[4:5], vcc
	s_xor_b64 s[4:5], exec, s[4:5]
; %bb.2:
	v_bfe_u32 v3, v2, 16, 1
	s_movk_i32 s6, 0x7fff
	v_add3_u32 v4, v2, v3, s6
                                        ; implicit-def: $vgpr2_vgpr3
; %bb.3:
	s_andn2_saveexec_b64 s[4:5], s[4:5]
; %bb.4:
	v_mov_b32_e32 v3, 0
	v_or_b32_e32 v4, 0x10000, v2
	v_cmp_eq_u32_sdwa vcc, v2, v3 src0_sel:WORD_0 src1_sel:DWORD
	v_cndmask_b32_e32 v4, v4, v2, vcc
; %bb.5:
	s_or_b64 exec, exec, s[4:5]
	v_lshrrev_b32_e32 v2, 16, v4
.LBB220_6:
	s_or_b64 exec, exec, s[2:3]
	v_mov_b32_e32 v3, s1
	v_add_co_u32_e32 v0, vcc, s0, v0
	v_addc_co_u32_e32 v1, vcc, v3, v1, vcc
	global_store_short v[0:1], v2, off
	s_endpgm
	.section	.rodata,"a",@progbits
	.p2align	6, 0x0
	.amdhsa_kernel _Z33tail_segmented_warp_reduce_kernelI12hip_bfloat16hLj64ELj2EENSt9enable_ifIXsr10test_utilsE35device_test_enabled_for_warp_size_vIXT2_EEEvE4typeEPT_PT0_S5_
		.amdhsa_group_segment_fixed_size 0
		.amdhsa_private_segment_fixed_size 0
		.amdhsa_kernarg_size 280
		.amdhsa_user_sgpr_count 6
		.amdhsa_user_sgpr_private_segment_buffer 1
		.amdhsa_user_sgpr_dispatch_ptr 0
		.amdhsa_user_sgpr_queue_ptr 0
		.amdhsa_user_sgpr_kernarg_segment_ptr 1
		.amdhsa_user_sgpr_dispatch_id 0
		.amdhsa_user_sgpr_flat_scratch_init 0
		.amdhsa_user_sgpr_kernarg_preload_length 0
		.amdhsa_user_sgpr_kernarg_preload_offset 0
		.amdhsa_user_sgpr_private_segment_size 0
		.amdhsa_uses_dynamic_stack 0
		.amdhsa_system_sgpr_private_segment_wavefront_offset 0
		.amdhsa_system_sgpr_workgroup_id_x 1
		.amdhsa_system_sgpr_workgroup_id_y 0
		.amdhsa_system_sgpr_workgroup_id_z 0
		.amdhsa_system_sgpr_workgroup_info 0
		.amdhsa_system_vgpr_workitem_id 0
		.amdhsa_next_free_vgpr 9
		.amdhsa_next_free_sgpr 12
		.amdhsa_accum_offset 12
		.amdhsa_reserve_vcc 1
		.amdhsa_reserve_flat_scratch 0
		.amdhsa_float_round_mode_32 0
		.amdhsa_float_round_mode_16_64 0
		.amdhsa_float_denorm_mode_32 3
		.amdhsa_float_denorm_mode_16_64 3
		.amdhsa_dx10_clamp 1
		.amdhsa_ieee_mode 1
		.amdhsa_fp16_overflow 0
		.amdhsa_tg_split 0
		.amdhsa_exception_fp_ieee_invalid_op 0
		.amdhsa_exception_fp_denorm_src 0
		.amdhsa_exception_fp_ieee_div_zero 0
		.amdhsa_exception_fp_ieee_overflow 0
		.amdhsa_exception_fp_ieee_underflow 0
		.amdhsa_exception_fp_ieee_inexact 0
		.amdhsa_exception_int_div_zero 0
	.end_amdhsa_kernel
	.section	.text._Z33tail_segmented_warp_reduce_kernelI12hip_bfloat16hLj64ELj2EENSt9enable_ifIXsr10test_utilsE35device_test_enabled_for_warp_size_vIXT2_EEEvE4typeEPT_PT0_S5_,"axG",@progbits,_Z33tail_segmented_warp_reduce_kernelI12hip_bfloat16hLj64ELj2EENSt9enable_ifIXsr10test_utilsE35device_test_enabled_for_warp_size_vIXT2_EEEvE4typeEPT_PT0_S5_,comdat
.Lfunc_end220:
	.size	_Z33tail_segmented_warp_reduce_kernelI12hip_bfloat16hLj64ELj2EENSt9enable_ifIXsr10test_utilsE35device_test_enabled_for_warp_size_vIXT2_EEEvE4typeEPT_PT0_S5_, .Lfunc_end220-_Z33tail_segmented_warp_reduce_kernelI12hip_bfloat16hLj64ELj2EENSt9enable_ifIXsr10test_utilsE35device_test_enabled_for_warp_size_vIXT2_EEEvE4typeEPT_PT0_S5_
                                        ; -- End function
	.section	.AMDGPU.csdata,"",@progbits
; Kernel info:
; codeLenInByte = 336
; NumSgprs: 16
; NumVgprs: 9
; NumAgprs: 0
; TotalNumVgprs: 9
; ScratchSize: 0
; MemoryBound: 0
; FloatMode: 240
; IeeeMode: 1
; LDSByteSize: 0 bytes/workgroup (compile time only)
; SGPRBlocks: 1
; VGPRBlocks: 1
; NumSGPRsForWavesPerEU: 16
; NumVGPRsForWavesPerEU: 9
; AccumOffset: 12
; Occupancy: 8
; WaveLimiterHint : 0
; COMPUTE_PGM_RSRC2:SCRATCH_EN: 0
; COMPUTE_PGM_RSRC2:USER_SGPR: 6
; COMPUTE_PGM_RSRC2:TRAP_HANDLER: 0
; COMPUTE_PGM_RSRC2:TGID_X_EN: 1
; COMPUTE_PGM_RSRC2:TGID_Y_EN: 0
; COMPUTE_PGM_RSRC2:TGID_Z_EN: 0
; COMPUTE_PGM_RSRC2:TIDIG_COMP_CNT: 0
; COMPUTE_PGM_RSRC3_GFX90A:ACCUM_OFFSET: 2
; COMPUTE_PGM_RSRC3_GFX90A:TG_SPLIT: 0
	.section	.text._Z33tail_segmented_warp_reduce_kernelI12hip_bfloat16hLj32ELj1EENSt9enable_ifIXsr10test_utilsE35device_test_enabled_for_warp_size_vIXT2_EEEvE4typeEPT_PT0_S5_,"axG",@progbits,_Z33tail_segmented_warp_reduce_kernelI12hip_bfloat16hLj32ELj1EENSt9enable_ifIXsr10test_utilsE35device_test_enabled_for_warp_size_vIXT2_EEEvE4typeEPT_PT0_S5_,comdat
	.protected	_Z33tail_segmented_warp_reduce_kernelI12hip_bfloat16hLj32ELj1EENSt9enable_ifIXsr10test_utilsE35device_test_enabled_for_warp_size_vIXT2_EEEvE4typeEPT_PT0_S5_ ; -- Begin function _Z33tail_segmented_warp_reduce_kernelI12hip_bfloat16hLj32ELj1EENSt9enable_ifIXsr10test_utilsE35device_test_enabled_for_warp_size_vIXT2_EEEvE4typeEPT_PT0_S5_
	.globl	_Z33tail_segmented_warp_reduce_kernelI12hip_bfloat16hLj32ELj1EENSt9enable_ifIXsr10test_utilsE35device_test_enabled_for_warp_size_vIXT2_EEEvE4typeEPT_PT0_S5_
	.p2align	8
	.type	_Z33tail_segmented_warp_reduce_kernelI12hip_bfloat16hLj32ELj1EENSt9enable_ifIXsr10test_utilsE35device_test_enabled_for_warp_size_vIXT2_EEEvE4typeEPT_PT0_S5_,@function
_Z33tail_segmented_warp_reduce_kernelI12hip_bfloat16hLj32ELj1EENSt9enable_ifIXsr10test_utilsE35device_test_enabled_for_warp_size_vIXT2_EEEvE4typeEPT_PT0_S5_: ; @_Z33tail_segmented_warp_reduce_kernelI12hip_bfloat16hLj32ELj1EENSt9enable_ifIXsr10test_utilsE35device_test_enabled_for_warp_size_vIXT2_EEEvE4typeEPT_PT0_S5_
; %bb.0:
	s_load_dword s7, s[4:5], 0x24
	s_load_dwordx2 s[0:1], s[4:5], 0x0
	s_load_dwordx2 s[2:3], s[4:5], 0x10
	v_mov_b32_e32 v1, 0
	s_waitcnt lgkmcnt(0)
	s_and_b32 s4, s7, 0xffff
	s_mul_i32 s6, s6, s4
	v_add_u32_e32 v0, s6, v0
	v_lshlrev_b64 v[0:1], 1, v[0:1]
	v_mov_b32_e32 v3, s1
	v_add_co_u32_e32 v2, vcc, s0, v0
	v_addc_co_u32_e32 v3, vcc, v3, v1, vcc
	global_load_ushort v2, v[2:3], off
	v_mov_b32_e32 v3, s3
	v_add_co_u32_e32 v0, vcc, s2, v0
	v_addc_co_u32_e32 v1, vcc, v3, v1, vcc
	s_waitcnt vmcnt(0)
	global_store_short v[0:1], v2, off
	s_endpgm
	.section	.rodata,"a",@progbits
	.p2align	6, 0x0
	.amdhsa_kernel _Z33tail_segmented_warp_reduce_kernelI12hip_bfloat16hLj32ELj1EENSt9enable_ifIXsr10test_utilsE35device_test_enabled_for_warp_size_vIXT2_EEEvE4typeEPT_PT0_S5_
		.amdhsa_group_segment_fixed_size 0
		.amdhsa_private_segment_fixed_size 0
		.amdhsa_kernarg_size 280
		.amdhsa_user_sgpr_count 6
		.amdhsa_user_sgpr_private_segment_buffer 1
		.amdhsa_user_sgpr_dispatch_ptr 0
		.amdhsa_user_sgpr_queue_ptr 0
		.amdhsa_user_sgpr_kernarg_segment_ptr 1
		.amdhsa_user_sgpr_dispatch_id 0
		.amdhsa_user_sgpr_flat_scratch_init 0
		.amdhsa_user_sgpr_kernarg_preload_length 0
		.amdhsa_user_sgpr_kernarg_preload_offset 0
		.amdhsa_user_sgpr_private_segment_size 0
		.amdhsa_uses_dynamic_stack 0
		.amdhsa_system_sgpr_private_segment_wavefront_offset 0
		.amdhsa_system_sgpr_workgroup_id_x 1
		.amdhsa_system_sgpr_workgroup_id_y 0
		.amdhsa_system_sgpr_workgroup_id_z 0
		.amdhsa_system_sgpr_workgroup_info 0
		.amdhsa_system_vgpr_workitem_id 0
		.amdhsa_next_free_vgpr 4
		.amdhsa_next_free_sgpr 8
		.amdhsa_accum_offset 4
		.amdhsa_reserve_vcc 1
		.amdhsa_reserve_flat_scratch 0
		.amdhsa_float_round_mode_32 0
		.amdhsa_float_round_mode_16_64 0
		.amdhsa_float_denorm_mode_32 3
		.amdhsa_float_denorm_mode_16_64 3
		.amdhsa_dx10_clamp 1
		.amdhsa_ieee_mode 1
		.amdhsa_fp16_overflow 0
		.amdhsa_tg_split 0
		.amdhsa_exception_fp_ieee_invalid_op 0
		.amdhsa_exception_fp_denorm_src 0
		.amdhsa_exception_fp_ieee_div_zero 0
		.amdhsa_exception_fp_ieee_overflow 0
		.amdhsa_exception_fp_ieee_underflow 0
		.amdhsa_exception_fp_ieee_inexact 0
		.amdhsa_exception_int_div_zero 0
	.end_amdhsa_kernel
	.section	.text._Z33tail_segmented_warp_reduce_kernelI12hip_bfloat16hLj32ELj1EENSt9enable_ifIXsr10test_utilsE35device_test_enabled_for_warp_size_vIXT2_EEEvE4typeEPT_PT0_S5_,"axG",@progbits,_Z33tail_segmented_warp_reduce_kernelI12hip_bfloat16hLj32ELj1EENSt9enable_ifIXsr10test_utilsE35device_test_enabled_for_warp_size_vIXT2_EEEvE4typeEPT_PT0_S5_,comdat
.Lfunc_end221:
	.size	_Z33tail_segmented_warp_reduce_kernelI12hip_bfloat16hLj32ELj1EENSt9enable_ifIXsr10test_utilsE35device_test_enabled_for_warp_size_vIXT2_EEEvE4typeEPT_PT0_S5_, .Lfunc_end221-_Z33tail_segmented_warp_reduce_kernelI12hip_bfloat16hLj32ELj1EENSt9enable_ifIXsr10test_utilsE35device_test_enabled_for_warp_size_vIXT2_EEEvE4typeEPT_PT0_S5_
                                        ; -- End function
	.section	.AMDGPU.csdata,"",@progbits
; Kernel info:
; codeLenInByte = 104
; NumSgprs: 12
; NumVgprs: 4
; NumAgprs: 0
; TotalNumVgprs: 4
; ScratchSize: 0
; MemoryBound: 0
; FloatMode: 240
; IeeeMode: 1
; LDSByteSize: 0 bytes/workgroup (compile time only)
; SGPRBlocks: 1
; VGPRBlocks: 0
; NumSGPRsForWavesPerEU: 12
; NumVGPRsForWavesPerEU: 4
; AccumOffset: 4
; Occupancy: 8
; WaveLimiterHint : 0
; COMPUTE_PGM_RSRC2:SCRATCH_EN: 0
; COMPUTE_PGM_RSRC2:USER_SGPR: 6
; COMPUTE_PGM_RSRC2:TRAP_HANDLER: 0
; COMPUTE_PGM_RSRC2:TGID_X_EN: 1
; COMPUTE_PGM_RSRC2:TGID_Y_EN: 0
; COMPUTE_PGM_RSRC2:TGID_Z_EN: 0
; COMPUTE_PGM_RSRC2:TIDIG_COMP_CNT: 0
; COMPUTE_PGM_RSRC3_GFX90A:ACCUM_OFFSET: 0
; COMPUTE_PGM_RSRC3_GFX90A:TG_SPLIT: 0
	.section	.text._Z33tail_segmented_warp_reduce_kernelI12hip_bfloat16hLj64ELj1EENSt9enable_ifIXsr10test_utilsE35device_test_enabled_for_warp_size_vIXT2_EEEvE4typeEPT_PT0_S5_,"axG",@progbits,_Z33tail_segmented_warp_reduce_kernelI12hip_bfloat16hLj64ELj1EENSt9enable_ifIXsr10test_utilsE35device_test_enabled_for_warp_size_vIXT2_EEEvE4typeEPT_PT0_S5_,comdat
	.protected	_Z33tail_segmented_warp_reduce_kernelI12hip_bfloat16hLj64ELj1EENSt9enable_ifIXsr10test_utilsE35device_test_enabled_for_warp_size_vIXT2_EEEvE4typeEPT_PT0_S5_ ; -- Begin function _Z33tail_segmented_warp_reduce_kernelI12hip_bfloat16hLj64ELj1EENSt9enable_ifIXsr10test_utilsE35device_test_enabled_for_warp_size_vIXT2_EEEvE4typeEPT_PT0_S5_
	.globl	_Z33tail_segmented_warp_reduce_kernelI12hip_bfloat16hLj64ELj1EENSt9enable_ifIXsr10test_utilsE35device_test_enabled_for_warp_size_vIXT2_EEEvE4typeEPT_PT0_S5_
	.p2align	8
	.type	_Z33tail_segmented_warp_reduce_kernelI12hip_bfloat16hLj64ELj1EENSt9enable_ifIXsr10test_utilsE35device_test_enabled_for_warp_size_vIXT2_EEEvE4typeEPT_PT0_S5_,@function
_Z33tail_segmented_warp_reduce_kernelI12hip_bfloat16hLj64ELj1EENSt9enable_ifIXsr10test_utilsE35device_test_enabled_for_warp_size_vIXT2_EEEvE4typeEPT_PT0_S5_: ; @_Z33tail_segmented_warp_reduce_kernelI12hip_bfloat16hLj64ELj1EENSt9enable_ifIXsr10test_utilsE35device_test_enabled_for_warp_size_vIXT2_EEEvE4typeEPT_PT0_S5_
; %bb.0:
	s_load_dword s7, s[4:5], 0x24
	s_load_dwordx2 s[0:1], s[4:5], 0x0
	s_load_dwordx2 s[2:3], s[4:5], 0x10
	v_mov_b32_e32 v1, 0
	s_waitcnt lgkmcnt(0)
	s_and_b32 s4, s7, 0xffff
	s_mul_i32 s6, s6, s4
	v_add_u32_e32 v0, s6, v0
	v_lshlrev_b64 v[0:1], 1, v[0:1]
	v_mov_b32_e32 v3, s1
	v_add_co_u32_e32 v2, vcc, s0, v0
	v_addc_co_u32_e32 v3, vcc, v3, v1, vcc
	global_load_ushort v2, v[2:3], off
	v_mov_b32_e32 v3, s3
	v_add_co_u32_e32 v0, vcc, s2, v0
	v_addc_co_u32_e32 v1, vcc, v3, v1, vcc
	s_waitcnt vmcnt(0)
	global_store_short v[0:1], v2, off
	s_endpgm
	.section	.rodata,"a",@progbits
	.p2align	6, 0x0
	.amdhsa_kernel _Z33tail_segmented_warp_reduce_kernelI12hip_bfloat16hLj64ELj1EENSt9enable_ifIXsr10test_utilsE35device_test_enabled_for_warp_size_vIXT2_EEEvE4typeEPT_PT0_S5_
		.amdhsa_group_segment_fixed_size 0
		.amdhsa_private_segment_fixed_size 0
		.amdhsa_kernarg_size 280
		.amdhsa_user_sgpr_count 6
		.amdhsa_user_sgpr_private_segment_buffer 1
		.amdhsa_user_sgpr_dispatch_ptr 0
		.amdhsa_user_sgpr_queue_ptr 0
		.amdhsa_user_sgpr_kernarg_segment_ptr 1
		.amdhsa_user_sgpr_dispatch_id 0
		.amdhsa_user_sgpr_flat_scratch_init 0
		.amdhsa_user_sgpr_kernarg_preload_length 0
		.amdhsa_user_sgpr_kernarg_preload_offset 0
		.amdhsa_user_sgpr_private_segment_size 0
		.amdhsa_uses_dynamic_stack 0
		.amdhsa_system_sgpr_private_segment_wavefront_offset 0
		.amdhsa_system_sgpr_workgroup_id_x 1
		.amdhsa_system_sgpr_workgroup_id_y 0
		.amdhsa_system_sgpr_workgroup_id_z 0
		.amdhsa_system_sgpr_workgroup_info 0
		.amdhsa_system_vgpr_workitem_id 0
		.amdhsa_next_free_vgpr 4
		.amdhsa_next_free_sgpr 8
		.amdhsa_accum_offset 4
		.amdhsa_reserve_vcc 1
		.amdhsa_reserve_flat_scratch 0
		.amdhsa_float_round_mode_32 0
		.amdhsa_float_round_mode_16_64 0
		.amdhsa_float_denorm_mode_32 3
		.amdhsa_float_denorm_mode_16_64 3
		.amdhsa_dx10_clamp 1
		.amdhsa_ieee_mode 1
		.amdhsa_fp16_overflow 0
		.amdhsa_tg_split 0
		.amdhsa_exception_fp_ieee_invalid_op 0
		.amdhsa_exception_fp_denorm_src 0
		.amdhsa_exception_fp_ieee_div_zero 0
		.amdhsa_exception_fp_ieee_overflow 0
		.amdhsa_exception_fp_ieee_underflow 0
		.amdhsa_exception_fp_ieee_inexact 0
		.amdhsa_exception_int_div_zero 0
	.end_amdhsa_kernel
	.section	.text._Z33tail_segmented_warp_reduce_kernelI12hip_bfloat16hLj64ELj1EENSt9enable_ifIXsr10test_utilsE35device_test_enabled_for_warp_size_vIXT2_EEEvE4typeEPT_PT0_S5_,"axG",@progbits,_Z33tail_segmented_warp_reduce_kernelI12hip_bfloat16hLj64ELj1EENSt9enable_ifIXsr10test_utilsE35device_test_enabled_for_warp_size_vIXT2_EEEvE4typeEPT_PT0_S5_,comdat
.Lfunc_end222:
	.size	_Z33tail_segmented_warp_reduce_kernelI12hip_bfloat16hLj64ELj1EENSt9enable_ifIXsr10test_utilsE35device_test_enabled_for_warp_size_vIXT2_EEEvE4typeEPT_PT0_S5_, .Lfunc_end222-_Z33tail_segmented_warp_reduce_kernelI12hip_bfloat16hLj64ELj1EENSt9enable_ifIXsr10test_utilsE35device_test_enabled_for_warp_size_vIXT2_EEEvE4typeEPT_PT0_S5_
                                        ; -- End function
	.section	.AMDGPU.csdata,"",@progbits
; Kernel info:
; codeLenInByte = 104
; NumSgprs: 12
; NumVgprs: 4
; NumAgprs: 0
; TotalNumVgprs: 4
; ScratchSize: 0
; MemoryBound: 0
; FloatMode: 240
; IeeeMode: 1
; LDSByteSize: 0 bytes/workgroup (compile time only)
; SGPRBlocks: 1
; VGPRBlocks: 0
; NumSGPRsForWavesPerEU: 12
; NumVGPRsForWavesPerEU: 4
; AccumOffset: 4
; Occupancy: 8
; WaveLimiterHint : 0
; COMPUTE_PGM_RSRC2:SCRATCH_EN: 0
; COMPUTE_PGM_RSRC2:USER_SGPR: 6
; COMPUTE_PGM_RSRC2:TRAP_HANDLER: 0
; COMPUTE_PGM_RSRC2:TGID_X_EN: 1
; COMPUTE_PGM_RSRC2:TGID_Y_EN: 0
; COMPUTE_PGM_RSRC2:TGID_Z_EN: 0
; COMPUTE_PGM_RSRC2:TIDIG_COMP_CNT: 0
; COMPUTE_PGM_RSRC3_GFX90A:ACCUM_OFFSET: 0
; COMPUTE_PGM_RSRC3_GFX90A:TG_SPLIT: 0
	.section	.text._Z33tail_segmented_warp_reduce_kernelI6__halfhLj256ELj64EENSt9enable_ifIXsr10test_utilsE35device_test_enabled_for_warp_size_vIXT2_EEEvE4typeEPT_PT0_S5_,"axG",@progbits,_Z33tail_segmented_warp_reduce_kernelI6__halfhLj256ELj64EENSt9enable_ifIXsr10test_utilsE35device_test_enabled_for_warp_size_vIXT2_EEEvE4typeEPT_PT0_S5_,comdat
	.protected	_Z33tail_segmented_warp_reduce_kernelI6__halfhLj256ELj64EENSt9enable_ifIXsr10test_utilsE35device_test_enabled_for_warp_size_vIXT2_EEEvE4typeEPT_PT0_S5_ ; -- Begin function _Z33tail_segmented_warp_reduce_kernelI6__halfhLj256ELj64EENSt9enable_ifIXsr10test_utilsE35device_test_enabled_for_warp_size_vIXT2_EEEvE4typeEPT_PT0_S5_
	.globl	_Z33tail_segmented_warp_reduce_kernelI6__halfhLj256ELj64EENSt9enable_ifIXsr10test_utilsE35device_test_enabled_for_warp_size_vIXT2_EEEvE4typeEPT_PT0_S5_
	.p2align	8
	.type	_Z33tail_segmented_warp_reduce_kernelI6__halfhLj256ELj64EENSt9enable_ifIXsr10test_utilsE35device_test_enabled_for_warp_size_vIXT2_EEEvE4typeEPT_PT0_S5_,@function
_Z33tail_segmented_warp_reduce_kernelI6__halfhLj256ELj64EENSt9enable_ifIXsr10test_utilsE35device_test_enabled_for_warp_size_vIXT2_EEEvE4typeEPT_PT0_S5_: ; @_Z33tail_segmented_warp_reduce_kernelI6__halfhLj256ELj64EENSt9enable_ifIXsr10test_utilsE35device_test_enabled_for_warp_size_vIXT2_EEEvE4typeEPT_PT0_S5_
; %bb.0:
	s_load_dword s7, s[4:5], 0x24
	s_load_dwordx4 s[0:3], s[4:5], 0x0
	s_load_dwordx2 s[8:9], s[4:5], 0x10
	v_mov_b32_e32 v3, 0
	s_waitcnt lgkmcnt(0)
	s_and_b32 s4, s7, 0xffff
	s_mul_i32 s6, s6, s4
	v_add_u32_e32 v2, s6, v0
	v_lshlrev_b64 v[0:1], 1, v[2:3]
	v_mov_b32_e32 v3, s1
	global_load_ubyte v6, v2, s[2:3]
	v_add_co_u32_e32 v2, vcc, s0, v0
	v_addc_co_u32_e32 v3, vcc, v3, v1, vcc
	global_load_ushort v2, v[2:3], off
	v_mbcnt_lo_u32_b32 v3, -1, 0
	v_mbcnt_hi_u32_b32 v10, -1, v3
	v_and_b32_e32 v7, 63, v10
	v_cmp_ne_u32_e32 vcc, 63, v7
	v_addc_co_u32_e32 v3, vcc, 0, v10, vcc
	v_cmp_gt_u32_e32 vcc, 62, v7
	v_cndmask_b32_e64 v14, 0, 1, vcc
	v_cmp_gt_u32_e32 vcc, 60, v7
	v_cndmask_b32_e64 v15, 0, 1, vcc
	v_cmp_gt_u32_e32 vcc, 56, v7
	v_lshlrev_b64 v[4:5], v10, -1
	v_cndmask_b32_e64 v16, 0, 1, vcc
	v_lshlrev_b32_e32 v3, 2, v3
	v_add_u32_e32 v8, 1, v10
	v_lshlrev_b32_e32 v14, 1, v14
	v_add_lshl_u32 v14, v14, v10, 2
	v_add_u32_e32 v9, 2, v10
	v_add_u32_e32 v11, 4, v10
	v_cmp_gt_u32_e64 s[0:1], 32, v7
	v_add_u32_e32 v12, 8, v10
	v_add_u32_e32 v13, 16, v10
	s_waitcnt vmcnt(1)
	v_cmp_ne_u16_e32 vcc, 0, v6
	v_and_b32_e32 v5, vcc_hi, v5
	v_or_b32_e32 v5, 0x80000000, v5
	v_and_b32_e32 v4, vcc_lo, v4
	v_ffbl_b32_e32 v5, v5
	s_waitcnt vmcnt(0)
	v_and_b32_e32 v6, 0xffff, v2
	ds_bpermute_b32 v3, v3, v6
	v_ffbl_b32_e32 v4, v4
	v_add_u32_e32 v5, 32, v5
	v_min_u32_e32 v17, v4, v5
	v_cmp_le_u32_e64 s[4:5], v8, v17
	s_waitcnt lgkmcnt(0)
	v_add_f16_e32 v3, v2, v3
	v_cndmask_b32_e64 v5, v6, v3, s[4:5]
	ds_bpermute_b32 v4, v14, v5
	v_cmp_gt_u32_e32 vcc, 48, v7
	v_cndmask_b32_e64 v14, v2, v3, s[4:5]
	v_cndmask_b32_e64 v6, 0, 1, vcc
	v_lshlrev_b32_e32 v8, 2, v15
	s_waitcnt lgkmcnt(0)
	v_add_f16_e32 v4, v4, v14
	v_cmp_le_u32_e32 vcc, v9, v17
	v_add_lshl_u32 v8, v8, v10, 2
	v_cndmask_b32_e32 v9, v5, v4, vcc
	ds_bpermute_b32 v5, v8, v9
	v_cndmask_b32_e32 v14, v14, v4, vcc
	v_cndmask_b32_e64 v7, 0, 1, s[0:1]
	v_lshlrev_b32_e32 v8, 3, v16
	v_cmp_le_u32_e64 s[0:1], v11, v17
	s_waitcnt lgkmcnt(0)
	v_add_f16_e32 v5, v5, v14
	v_add_lshl_u32 v8, v8, v10, 2
	v_cndmask_b32_e64 v9, v9, v5, s[0:1]
	ds_bpermute_b32 v8, v8, v9
	v_lshlrev_b32_e32 v6, 4, v6
	v_cndmask_b32_e64 v14, v14, v5, s[0:1]
	v_lshlrev_b32_e32 v11, 5, v7
	v_add_lshl_u32 v7, v6, v10, 2
	s_waitcnt lgkmcnt(0)
	v_add_f16_e32 v6, v8, v14
	v_cmp_le_u32_e64 s[2:3], v12, v17
	v_cndmask_b32_e64 v9, v9, v6, s[2:3]
	ds_bpermute_b32 v8, v7, v9
	s_or_b64 s[4:5], s[4:5], vcc
	s_or_b64 s[4:5], s[0:1], s[4:5]
	v_cndmask_b32_e64 v7, v14, v6, s[2:3]
	s_or_b64 s[6:7], s[2:3], s[4:5]
	s_waitcnt lgkmcnt(0)
	v_add_f16_e32 v8, v8, v7
	v_cmp_le_u32_e64 s[4:5], v13, v17
	v_cndmask_b32_e64 v9, v9, v8, s[4:5]
	v_add_lshl_u32 v11, v11, v10, 2
	ds_bpermute_b32 v9, v11, v9
	v_add_u32_e32 v10, 32, v10
	s_or_b64 s[10:11], s[4:5], s[6:7]
	v_cmp_le_u32_e64 s[6:7], v10, v17
	s_or_b64 s[12:13], s[6:7], s[10:11]
	s_and_saveexec_b64 s[10:11], s[12:13]
	s_cbranch_execz .LBB223_2
; %bb.1:
	v_cndmask_b32_e32 v2, v3, v4, vcc
	v_cndmask_b32_e64 v2, v2, v5, s[0:1]
	v_cndmask_b32_e64 v2, v2, v6, s[2:3]
	;; [unrolled: 1-line block ×4, first 2 shown]
	s_waitcnt lgkmcnt(0)
	v_add_f16_e32 v3, v9, v3
	v_cndmask_b32_e64 v2, v2, v3, s[6:7]
.LBB223_2:
	s_or_b64 exec, exec, s[10:11]
	v_mov_b32_e32 v3, s9
	v_add_co_u32_e32 v0, vcc, s8, v0
	v_addc_co_u32_e32 v1, vcc, v3, v1, vcc
	global_store_short v[0:1], v2, off
	s_endpgm
	.section	.rodata,"a",@progbits
	.p2align	6, 0x0
	.amdhsa_kernel _Z33tail_segmented_warp_reduce_kernelI6__halfhLj256ELj64EENSt9enable_ifIXsr10test_utilsE35device_test_enabled_for_warp_size_vIXT2_EEEvE4typeEPT_PT0_S5_
		.amdhsa_group_segment_fixed_size 0
		.amdhsa_private_segment_fixed_size 0
		.amdhsa_kernarg_size 280
		.amdhsa_user_sgpr_count 6
		.amdhsa_user_sgpr_private_segment_buffer 1
		.amdhsa_user_sgpr_dispatch_ptr 0
		.amdhsa_user_sgpr_queue_ptr 0
		.amdhsa_user_sgpr_kernarg_segment_ptr 1
		.amdhsa_user_sgpr_dispatch_id 0
		.amdhsa_user_sgpr_flat_scratch_init 0
		.amdhsa_user_sgpr_kernarg_preload_length 0
		.amdhsa_user_sgpr_kernarg_preload_offset 0
		.amdhsa_user_sgpr_private_segment_size 0
		.amdhsa_uses_dynamic_stack 0
		.amdhsa_system_sgpr_private_segment_wavefront_offset 0
		.amdhsa_system_sgpr_workgroup_id_x 1
		.amdhsa_system_sgpr_workgroup_id_y 0
		.amdhsa_system_sgpr_workgroup_id_z 0
		.amdhsa_system_sgpr_workgroup_info 0
		.amdhsa_system_vgpr_workitem_id 0
		.amdhsa_next_free_vgpr 18
		.amdhsa_next_free_sgpr 14
		.amdhsa_accum_offset 20
		.amdhsa_reserve_vcc 1
		.amdhsa_reserve_flat_scratch 0
		.amdhsa_float_round_mode_32 0
		.amdhsa_float_round_mode_16_64 0
		.amdhsa_float_denorm_mode_32 3
		.amdhsa_float_denorm_mode_16_64 3
		.amdhsa_dx10_clamp 1
		.amdhsa_ieee_mode 1
		.amdhsa_fp16_overflow 0
		.amdhsa_tg_split 0
		.amdhsa_exception_fp_ieee_invalid_op 0
		.amdhsa_exception_fp_denorm_src 0
		.amdhsa_exception_fp_ieee_div_zero 0
		.amdhsa_exception_fp_ieee_overflow 0
		.amdhsa_exception_fp_ieee_underflow 0
		.amdhsa_exception_fp_ieee_inexact 0
		.amdhsa_exception_int_div_zero 0
	.end_amdhsa_kernel
	.section	.text._Z33tail_segmented_warp_reduce_kernelI6__halfhLj256ELj64EENSt9enable_ifIXsr10test_utilsE35device_test_enabled_for_warp_size_vIXT2_EEEvE4typeEPT_PT0_S5_,"axG",@progbits,_Z33tail_segmented_warp_reduce_kernelI6__halfhLj256ELj64EENSt9enable_ifIXsr10test_utilsE35device_test_enabled_for_warp_size_vIXT2_EEEvE4typeEPT_PT0_S5_,comdat
.Lfunc_end223:
	.size	_Z33tail_segmented_warp_reduce_kernelI6__halfhLj256ELj64EENSt9enable_ifIXsr10test_utilsE35device_test_enabled_for_warp_size_vIXT2_EEEvE4typeEPT_PT0_S5_, .Lfunc_end223-_Z33tail_segmented_warp_reduce_kernelI6__halfhLj256ELj64EENSt9enable_ifIXsr10test_utilsE35device_test_enabled_for_warp_size_vIXT2_EEEvE4typeEPT_PT0_S5_
                                        ; -- End function
	.section	.AMDGPU.csdata,"",@progbits
; Kernel info:
; codeLenInByte = 628
; NumSgprs: 18
; NumVgprs: 18
; NumAgprs: 0
; TotalNumVgprs: 18
; ScratchSize: 0
; MemoryBound: 0
; FloatMode: 240
; IeeeMode: 1
; LDSByteSize: 0 bytes/workgroup (compile time only)
; SGPRBlocks: 2
; VGPRBlocks: 2
; NumSGPRsForWavesPerEU: 18
; NumVGPRsForWavesPerEU: 18
; AccumOffset: 20
; Occupancy: 8
; WaveLimiterHint : 0
; COMPUTE_PGM_RSRC2:SCRATCH_EN: 0
; COMPUTE_PGM_RSRC2:USER_SGPR: 6
; COMPUTE_PGM_RSRC2:TRAP_HANDLER: 0
; COMPUTE_PGM_RSRC2:TGID_X_EN: 1
; COMPUTE_PGM_RSRC2:TGID_Y_EN: 0
; COMPUTE_PGM_RSRC2:TGID_Z_EN: 0
; COMPUTE_PGM_RSRC2:TIDIG_COMP_CNT: 0
; COMPUTE_PGM_RSRC3_GFX90A:ACCUM_OFFSET: 4
; COMPUTE_PGM_RSRC3_GFX90A:TG_SPLIT: 0
	.section	.text._Z33tail_segmented_warp_reduce_kernelI6__halfhLj128ELj32EENSt9enable_ifIXsr10test_utilsE35device_test_enabled_for_warp_size_vIXT2_EEEvE4typeEPT_PT0_S5_,"axG",@progbits,_Z33tail_segmented_warp_reduce_kernelI6__halfhLj128ELj32EENSt9enable_ifIXsr10test_utilsE35device_test_enabled_for_warp_size_vIXT2_EEEvE4typeEPT_PT0_S5_,comdat
	.protected	_Z33tail_segmented_warp_reduce_kernelI6__halfhLj128ELj32EENSt9enable_ifIXsr10test_utilsE35device_test_enabled_for_warp_size_vIXT2_EEEvE4typeEPT_PT0_S5_ ; -- Begin function _Z33tail_segmented_warp_reduce_kernelI6__halfhLj128ELj32EENSt9enable_ifIXsr10test_utilsE35device_test_enabled_for_warp_size_vIXT2_EEEvE4typeEPT_PT0_S5_
	.globl	_Z33tail_segmented_warp_reduce_kernelI6__halfhLj128ELj32EENSt9enable_ifIXsr10test_utilsE35device_test_enabled_for_warp_size_vIXT2_EEEvE4typeEPT_PT0_S5_
	.p2align	8
	.type	_Z33tail_segmented_warp_reduce_kernelI6__halfhLj128ELj32EENSt9enable_ifIXsr10test_utilsE35device_test_enabled_for_warp_size_vIXT2_EEEvE4typeEPT_PT0_S5_,@function
_Z33tail_segmented_warp_reduce_kernelI6__halfhLj128ELj32EENSt9enable_ifIXsr10test_utilsE35device_test_enabled_for_warp_size_vIXT2_EEEvE4typeEPT_PT0_S5_: ; @_Z33tail_segmented_warp_reduce_kernelI6__halfhLj128ELj32EENSt9enable_ifIXsr10test_utilsE35device_test_enabled_for_warp_size_vIXT2_EEEvE4typeEPT_PT0_S5_
; %bb.0:
	s_load_dword s7, s[4:5], 0x24
	s_load_dwordx4 s[0:3], s[4:5], 0x0
	s_load_dwordx2 s[8:9], s[4:5], 0x10
	v_mov_b32_e32 v3, 0
	s_waitcnt lgkmcnt(0)
	s_and_b32 s4, s7, 0xffff
	s_mul_i32 s6, s6, s4
	v_add_u32_e32 v2, s6, v0
	v_lshlrev_b64 v[0:1], 1, v[2:3]
	v_mov_b32_e32 v3, s1
	global_load_ubyte v6, v2, s[2:3]
	v_add_co_u32_e32 v2, vcc, s0, v0
	v_addc_co_u32_e32 v3, vcc, v3, v1, vcc
	global_load_ushort v2, v[2:3], off
	v_mbcnt_lo_u32_b32 v3, -1, 0
	v_mbcnt_hi_u32_b32 v10, -1, v3
	v_and_b32_e32 v3, 31, v10
	v_cmp_ne_u32_e32 vcc, 31, v3
	v_addc_co_u32_e32 v8, vcc, 0, v10, vcc
	v_cmp_gt_u32_e32 vcc, 30, v3
	v_cndmask_b32_e64 v11, 0, 1, vcc
	v_cmp_gt_u32_e32 vcc, 28, v3
	v_lshlrev_b64 v[4:5], v10, -1
	v_cndmask_b32_e64 v13, 0, 1, vcc
	v_and_b32_e32 v7, 0x60, v10
	v_lshlrev_b32_e32 v8, 2, v8
	v_lshlrev_b32_e32 v11, 1, v11
	v_add_lshl_u32 v11, v11, v10, 2
	v_add_u32_e32 v9, 2, v3
	v_cmp_gt_u32_e64 s[0:1], 24, v3
	v_add_u32_e32 v12, 4, v3
	v_cmp_gt_u32_e64 s[2:3], 16, v3
	s_waitcnt vmcnt(1)
	v_cmp_ne_u16_e32 vcc, 0, v6
	v_and_b32_e32 v5, vcc_hi, v5
	v_and_b32_e32 v4, vcc_lo, v4
	v_lshrrev_b64 v[4:5], v7, v[4:5]
	v_or_b32_e32 v4, 0x80000000, v4
	s_waitcnt vmcnt(0)
	v_and_b32_e32 v6, 0xffff, v2
	ds_bpermute_b32 v7, v8, v6
	v_ffbl_b32_e32 v5, v5
	v_add_u32_e32 v5, 32, v5
	v_ffbl_b32_e32 v4, v4
	v_min_u32_e32 v4, v4, v5
	s_waitcnt lgkmcnt(0)
	v_add_f16_e32 v5, v2, v7
	v_cmp_lt_u32_e64 s[4:5], v3, v4
	v_cndmask_b32_e64 v7, v6, v5, s[4:5]
	ds_bpermute_b32 v6, v11, v7
	v_lshlrev_b32_e32 v8, 2, v13
	v_cndmask_b32_e64 v13, v2, v5, s[4:5]
	v_cmp_gt_u32_e32 vcc, v9, v4
	v_add_lshl_u32 v8, v8, v10, 2
	s_waitcnt lgkmcnt(0)
	v_add_f16_e32 v6, v6, v13
	v_cndmask_b32_e32 v9, v6, v7, vcc
	ds_bpermute_b32 v7, v8, v9
	v_cndmask_b32_e64 v8, 0, 1, s[0:1]
	v_cndmask_b32_e32 v13, v6, v13, vcc
	v_lshlrev_b32_e32 v8, 3, v8
	v_cmp_gt_u32_e64 s[0:1], v12, v4
	s_waitcnt lgkmcnt(0)
	v_add_f16_e32 v7, v7, v13
	v_add_lshl_u32 v8, v8, v10, 2
	v_cndmask_b32_e64 v12, v7, v9, s[0:1]
	ds_bpermute_b32 v9, v8, v12
	v_cndmask_b32_e64 v8, 0, 1, s[2:3]
	v_add_u32_e32 v11, 8, v3
	v_lshlrev_b32_e32 v14, 4, v8
	v_cndmask_b32_e64 v8, v7, v13, s[0:1]
	s_waitcnt lgkmcnt(0)
	v_add_f16_e32 v9, v9, v8
	v_cmp_gt_u32_e64 s[2:3], v11, v4
	v_cndmask_b32_e64 v11, v9, v12, s[2:3]
	v_add_lshl_u32 v10, v14, v10, 2
	ds_bpermute_b32 v10, v10, v11
	s_and_saveexec_b64 s[6:7], s[4:5]
	s_cbranch_execz .LBB224_2
; %bb.1:
	v_add_u32_e32 v2, 16, v3
	v_cndmask_b32_e32 v3, v6, v5, vcc
	v_cndmask_b32_e64 v3, v7, v3, s[0:1]
	v_cndmask_b32_e64 v5, v9, v8, s[2:3]
	;; [unrolled: 1-line block ×3, first 2 shown]
	s_waitcnt lgkmcnt(0)
	v_add_f16_e32 v5, v10, v5
	v_cmp_gt_u32_e32 vcc, v2, v4
	v_cndmask_b32_e32 v2, v5, v3, vcc
.LBB224_2:
	s_or_b64 exec, exec, s[6:7]
	v_mov_b32_e32 v3, s9
	v_add_co_u32_e32 v0, vcc, s8, v0
	v_addc_co_u32_e32 v1, vcc, v3, v1, vcc
	global_store_short v[0:1], v2, off
	s_endpgm
	.section	.rodata,"a",@progbits
	.p2align	6, 0x0
	.amdhsa_kernel _Z33tail_segmented_warp_reduce_kernelI6__halfhLj128ELj32EENSt9enable_ifIXsr10test_utilsE35device_test_enabled_for_warp_size_vIXT2_EEEvE4typeEPT_PT0_S5_
		.amdhsa_group_segment_fixed_size 0
		.amdhsa_private_segment_fixed_size 0
		.amdhsa_kernarg_size 280
		.amdhsa_user_sgpr_count 6
		.amdhsa_user_sgpr_private_segment_buffer 1
		.amdhsa_user_sgpr_dispatch_ptr 0
		.amdhsa_user_sgpr_queue_ptr 0
		.amdhsa_user_sgpr_kernarg_segment_ptr 1
		.amdhsa_user_sgpr_dispatch_id 0
		.amdhsa_user_sgpr_flat_scratch_init 0
		.amdhsa_user_sgpr_kernarg_preload_length 0
		.amdhsa_user_sgpr_kernarg_preload_offset 0
		.amdhsa_user_sgpr_private_segment_size 0
		.amdhsa_uses_dynamic_stack 0
		.amdhsa_system_sgpr_private_segment_wavefront_offset 0
		.amdhsa_system_sgpr_workgroup_id_x 1
		.amdhsa_system_sgpr_workgroup_id_y 0
		.amdhsa_system_sgpr_workgroup_id_z 0
		.amdhsa_system_sgpr_workgroup_info 0
		.amdhsa_system_vgpr_workitem_id 0
		.amdhsa_next_free_vgpr 15
		.amdhsa_next_free_sgpr 10
		.amdhsa_accum_offset 16
		.amdhsa_reserve_vcc 1
		.amdhsa_reserve_flat_scratch 0
		.amdhsa_float_round_mode_32 0
		.amdhsa_float_round_mode_16_64 0
		.amdhsa_float_denorm_mode_32 3
		.amdhsa_float_denorm_mode_16_64 3
		.amdhsa_dx10_clamp 1
		.amdhsa_ieee_mode 1
		.amdhsa_fp16_overflow 0
		.amdhsa_tg_split 0
		.amdhsa_exception_fp_ieee_invalid_op 0
		.amdhsa_exception_fp_denorm_src 0
		.amdhsa_exception_fp_ieee_div_zero 0
		.amdhsa_exception_fp_ieee_overflow 0
		.amdhsa_exception_fp_ieee_underflow 0
		.amdhsa_exception_fp_ieee_inexact 0
		.amdhsa_exception_int_div_zero 0
	.end_amdhsa_kernel
	.section	.text._Z33tail_segmented_warp_reduce_kernelI6__halfhLj128ELj32EENSt9enable_ifIXsr10test_utilsE35device_test_enabled_for_warp_size_vIXT2_EEEvE4typeEPT_PT0_S5_,"axG",@progbits,_Z33tail_segmented_warp_reduce_kernelI6__halfhLj128ELj32EENSt9enable_ifIXsr10test_utilsE35device_test_enabled_for_warp_size_vIXT2_EEEvE4typeEPT_PT0_S5_,comdat
.Lfunc_end224:
	.size	_Z33tail_segmented_warp_reduce_kernelI6__halfhLj128ELj32EENSt9enable_ifIXsr10test_utilsE35device_test_enabled_for_warp_size_vIXT2_EEEvE4typeEPT_PT0_S5_, .Lfunc_end224-_Z33tail_segmented_warp_reduce_kernelI6__halfhLj128ELj32EENSt9enable_ifIXsr10test_utilsE35device_test_enabled_for_warp_size_vIXT2_EEEvE4typeEPT_PT0_S5_
                                        ; -- End function
	.section	.AMDGPU.csdata,"",@progbits
; Kernel info:
; codeLenInByte = 540
; NumSgprs: 14
; NumVgprs: 15
; NumAgprs: 0
; TotalNumVgprs: 15
; ScratchSize: 0
; MemoryBound: 0
; FloatMode: 240
; IeeeMode: 1
; LDSByteSize: 0 bytes/workgroup (compile time only)
; SGPRBlocks: 1
; VGPRBlocks: 1
; NumSGPRsForWavesPerEU: 14
; NumVGPRsForWavesPerEU: 15
; AccumOffset: 16
; Occupancy: 8
; WaveLimiterHint : 0
; COMPUTE_PGM_RSRC2:SCRATCH_EN: 0
; COMPUTE_PGM_RSRC2:USER_SGPR: 6
; COMPUTE_PGM_RSRC2:TRAP_HANDLER: 0
; COMPUTE_PGM_RSRC2:TGID_X_EN: 1
; COMPUTE_PGM_RSRC2:TGID_Y_EN: 0
; COMPUTE_PGM_RSRC2:TGID_Z_EN: 0
; COMPUTE_PGM_RSRC2:TIDIG_COMP_CNT: 0
; COMPUTE_PGM_RSRC3_GFX90A:ACCUM_OFFSET: 3
; COMPUTE_PGM_RSRC3_GFX90A:TG_SPLIT: 0
	.section	.text._Z33tail_segmented_warp_reduce_kernelI6__halfhLj64ELj16EENSt9enable_ifIXsr10test_utilsE35device_test_enabled_for_warp_size_vIXT2_EEEvE4typeEPT_PT0_S5_,"axG",@progbits,_Z33tail_segmented_warp_reduce_kernelI6__halfhLj64ELj16EENSt9enable_ifIXsr10test_utilsE35device_test_enabled_for_warp_size_vIXT2_EEEvE4typeEPT_PT0_S5_,comdat
	.protected	_Z33tail_segmented_warp_reduce_kernelI6__halfhLj64ELj16EENSt9enable_ifIXsr10test_utilsE35device_test_enabled_for_warp_size_vIXT2_EEEvE4typeEPT_PT0_S5_ ; -- Begin function _Z33tail_segmented_warp_reduce_kernelI6__halfhLj64ELj16EENSt9enable_ifIXsr10test_utilsE35device_test_enabled_for_warp_size_vIXT2_EEEvE4typeEPT_PT0_S5_
	.globl	_Z33tail_segmented_warp_reduce_kernelI6__halfhLj64ELj16EENSt9enable_ifIXsr10test_utilsE35device_test_enabled_for_warp_size_vIXT2_EEEvE4typeEPT_PT0_S5_
	.p2align	8
	.type	_Z33tail_segmented_warp_reduce_kernelI6__halfhLj64ELj16EENSt9enable_ifIXsr10test_utilsE35device_test_enabled_for_warp_size_vIXT2_EEEvE4typeEPT_PT0_S5_,@function
_Z33tail_segmented_warp_reduce_kernelI6__halfhLj64ELj16EENSt9enable_ifIXsr10test_utilsE35device_test_enabled_for_warp_size_vIXT2_EEEvE4typeEPT_PT0_S5_: ; @_Z33tail_segmented_warp_reduce_kernelI6__halfhLj64ELj16EENSt9enable_ifIXsr10test_utilsE35device_test_enabled_for_warp_size_vIXT2_EEEvE4typeEPT_PT0_S5_
; %bb.0:
	s_load_dword s7, s[4:5], 0x24
	s_load_dwordx4 s[0:3], s[4:5], 0x0
	s_load_dwordx2 s[8:9], s[4:5], 0x10
	v_mov_b32_e32 v3, 0
	s_waitcnt lgkmcnt(0)
	s_and_b32 s4, s7, 0xffff
	s_mul_i32 s6, s6, s4
	v_add_u32_e32 v2, s6, v0
	v_lshlrev_b64 v[0:1], 1, v[2:3]
	v_mov_b32_e32 v3, s1
	global_load_ubyte v6, v2, s[2:3]
	v_add_co_u32_e32 v2, vcc, s0, v0
	v_addc_co_u32_e32 v3, vcc, v3, v1, vcc
	global_load_ushort v2, v[2:3], off
	v_mbcnt_lo_u32_b32 v3, -1, 0
	v_mbcnt_hi_u32_b32 v9, -1, v3
	v_and_b32_e32 v3, 15, v9
	v_cmp_ne_u32_e32 vcc, 15, v3
	v_addc_co_u32_e32 v8, vcc, 0, v9, vcc
	v_cmp_gt_u32_e32 vcc, 14, v3
	v_lshlrev_b64 v[4:5], v9, -1
	v_cndmask_b32_e64 v11, 0, 1, vcc
	v_and_b32_e32 v7, 0x70, v9
	v_lshlrev_b32_e32 v8, 2, v8
	v_lshlrev_b32_e32 v11, 1, v11
	v_add_lshl_u32 v11, v11, v9, 2
	v_add_u32_e32 v10, 2, v3
	v_cmp_gt_u32_e64 s[0:1], 8, v3
	v_add_u32_e32 v12, 4, v3
	s_waitcnt vmcnt(1)
	v_cmp_ne_u16_e32 vcc, 0, v6
	v_and_b32_e32 v5, vcc_hi, v5
	v_and_b32_e32 v4, vcc_lo, v4
	v_lshrrev_b64 v[4:5], v7, v[4:5]
	v_or_b32_e32 v4, 0x8000, v4
	s_waitcnt vmcnt(0)
	v_and_b32_e32 v6, 0xffff, v2
	ds_bpermute_b32 v7, v8, v6
	v_ffbl_b32_e32 v5, v5
	v_add_u32_e32 v5, 32, v5
	v_ffbl_b32_e32 v4, v4
	v_min_u32_e32 v4, v4, v5
	s_waitcnt lgkmcnt(0)
	v_add_f16_e32 v5, v2, v7
	v_cmp_lt_u32_e64 s[2:3], v3, v4
	v_cndmask_b32_e64 v7, v6, v5, s[2:3]
	ds_bpermute_b32 v6, v11, v7
	v_cmp_gt_u32_e32 vcc, 12, v3
	v_cndmask_b32_e64 v8, 0, 1, vcc
	v_cndmask_b32_e64 v11, v2, v5, s[2:3]
	v_lshlrev_b32_e32 v8, 2, v8
	s_waitcnt lgkmcnt(0)
	v_add_f16_e32 v6, v6, v11
	v_cmp_gt_u32_e32 vcc, v10, v4
	v_add_lshl_u32 v8, v8, v9, 2
	v_cndmask_b32_e32 v10, v6, v7, vcc
	ds_bpermute_b32 v8, v8, v10
	v_cndmask_b32_e64 v7, 0, 1, s[0:1]
	v_lshlrev_b32_e32 v13, 3, v7
	v_cndmask_b32_e32 v7, v6, v11, vcc
	v_cmp_gt_u32_e64 s[0:1], v12, v4
	s_waitcnt lgkmcnt(0)
	v_add_f16_e32 v8, v8, v7
	v_cndmask_b32_e64 v10, v8, v10, s[0:1]
	v_add_lshl_u32 v9, v13, v9, 2
	ds_bpermute_b32 v9, v9, v10
	s_and_saveexec_b64 s[4:5], s[2:3]
	s_cbranch_execz .LBB225_2
; %bb.1:
	v_add_u32_e32 v2, 8, v3
	v_cndmask_b32_e32 v3, v6, v5, vcc
	v_cndmask_b32_e64 v5, v8, v7, s[0:1]
	v_cndmask_b32_e64 v3, v8, v3, s[0:1]
	s_waitcnt lgkmcnt(0)
	v_add_f16_e32 v5, v9, v5
	v_cmp_gt_u32_e32 vcc, v2, v4
	v_cndmask_b32_e32 v2, v5, v3, vcc
.LBB225_2:
	s_or_b64 exec, exec, s[4:5]
	v_mov_b32_e32 v3, s9
	v_add_co_u32_e32 v0, vcc, s8, v0
	v_addc_co_u32_e32 v1, vcc, v3, v1, vcc
	global_store_short v[0:1], v2, off
	s_endpgm
	.section	.rodata,"a",@progbits
	.p2align	6, 0x0
	.amdhsa_kernel _Z33tail_segmented_warp_reduce_kernelI6__halfhLj64ELj16EENSt9enable_ifIXsr10test_utilsE35device_test_enabled_for_warp_size_vIXT2_EEEvE4typeEPT_PT0_S5_
		.amdhsa_group_segment_fixed_size 0
		.amdhsa_private_segment_fixed_size 0
		.amdhsa_kernarg_size 280
		.amdhsa_user_sgpr_count 6
		.amdhsa_user_sgpr_private_segment_buffer 1
		.amdhsa_user_sgpr_dispatch_ptr 0
		.amdhsa_user_sgpr_queue_ptr 0
		.amdhsa_user_sgpr_kernarg_segment_ptr 1
		.amdhsa_user_sgpr_dispatch_id 0
		.amdhsa_user_sgpr_flat_scratch_init 0
		.amdhsa_user_sgpr_kernarg_preload_length 0
		.amdhsa_user_sgpr_kernarg_preload_offset 0
		.amdhsa_user_sgpr_private_segment_size 0
		.amdhsa_uses_dynamic_stack 0
		.amdhsa_system_sgpr_private_segment_wavefront_offset 0
		.amdhsa_system_sgpr_workgroup_id_x 1
		.amdhsa_system_sgpr_workgroup_id_y 0
		.amdhsa_system_sgpr_workgroup_id_z 0
		.amdhsa_system_sgpr_workgroup_info 0
		.amdhsa_system_vgpr_workitem_id 0
		.amdhsa_next_free_vgpr 14
		.amdhsa_next_free_sgpr 10
		.amdhsa_accum_offset 16
		.amdhsa_reserve_vcc 1
		.amdhsa_reserve_flat_scratch 0
		.amdhsa_float_round_mode_32 0
		.amdhsa_float_round_mode_16_64 0
		.amdhsa_float_denorm_mode_32 3
		.amdhsa_float_denorm_mode_16_64 3
		.amdhsa_dx10_clamp 1
		.amdhsa_ieee_mode 1
		.amdhsa_fp16_overflow 0
		.amdhsa_tg_split 0
		.amdhsa_exception_fp_ieee_invalid_op 0
		.amdhsa_exception_fp_denorm_src 0
		.amdhsa_exception_fp_ieee_div_zero 0
		.amdhsa_exception_fp_ieee_overflow 0
		.amdhsa_exception_fp_ieee_underflow 0
		.amdhsa_exception_fp_ieee_inexact 0
		.amdhsa_exception_int_div_zero 0
	.end_amdhsa_kernel
	.section	.text._Z33tail_segmented_warp_reduce_kernelI6__halfhLj64ELj16EENSt9enable_ifIXsr10test_utilsE35device_test_enabled_for_warp_size_vIXT2_EEEvE4typeEPT_PT0_S5_,"axG",@progbits,_Z33tail_segmented_warp_reduce_kernelI6__halfhLj64ELj16EENSt9enable_ifIXsr10test_utilsE35device_test_enabled_for_warp_size_vIXT2_EEEvE4typeEPT_PT0_S5_,comdat
.Lfunc_end225:
	.size	_Z33tail_segmented_warp_reduce_kernelI6__halfhLj64ELj16EENSt9enable_ifIXsr10test_utilsE35device_test_enabled_for_warp_size_vIXT2_EEEvE4typeEPT_PT0_S5_, .Lfunc_end225-_Z33tail_segmented_warp_reduce_kernelI6__halfhLj64ELj16EENSt9enable_ifIXsr10test_utilsE35device_test_enabled_for_warp_size_vIXT2_EEEvE4typeEPT_PT0_S5_
                                        ; -- End function
	.section	.AMDGPU.csdata,"",@progbits
; Kernel info:
; codeLenInByte = 460
; NumSgprs: 14
; NumVgprs: 14
; NumAgprs: 0
; TotalNumVgprs: 14
; ScratchSize: 0
; MemoryBound: 0
; FloatMode: 240
; IeeeMode: 1
; LDSByteSize: 0 bytes/workgroup (compile time only)
; SGPRBlocks: 1
; VGPRBlocks: 1
; NumSGPRsForWavesPerEU: 14
; NumVGPRsForWavesPerEU: 14
; AccumOffset: 16
; Occupancy: 8
; WaveLimiterHint : 0
; COMPUTE_PGM_RSRC2:SCRATCH_EN: 0
; COMPUTE_PGM_RSRC2:USER_SGPR: 6
; COMPUTE_PGM_RSRC2:TRAP_HANDLER: 0
; COMPUTE_PGM_RSRC2:TGID_X_EN: 1
; COMPUTE_PGM_RSRC2:TGID_Y_EN: 0
; COMPUTE_PGM_RSRC2:TGID_Z_EN: 0
; COMPUTE_PGM_RSRC2:TIDIG_COMP_CNT: 0
; COMPUTE_PGM_RSRC3_GFX90A:ACCUM_OFFSET: 3
; COMPUTE_PGM_RSRC3_GFX90A:TG_SPLIT: 0
	.section	.text._Z33tail_segmented_warp_reduce_kernelI6__halfhLj32ELj8EENSt9enable_ifIXsr10test_utilsE35device_test_enabled_for_warp_size_vIXT2_EEEvE4typeEPT_PT0_S5_,"axG",@progbits,_Z33tail_segmented_warp_reduce_kernelI6__halfhLj32ELj8EENSt9enable_ifIXsr10test_utilsE35device_test_enabled_for_warp_size_vIXT2_EEEvE4typeEPT_PT0_S5_,comdat
	.protected	_Z33tail_segmented_warp_reduce_kernelI6__halfhLj32ELj8EENSt9enable_ifIXsr10test_utilsE35device_test_enabled_for_warp_size_vIXT2_EEEvE4typeEPT_PT0_S5_ ; -- Begin function _Z33tail_segmented_warp_reduce_kernelI6__halfhLj32ELj8EENSt9enable_ifIXsr10test_utilsE35device_test_enabled_for_warp_size_vIXT2_EEEvE4typeEPT_PT0_S5_
	.globl	_Z33tail_segmented_warp_reduce_kernelI6__halfhLj32ELj8EENSt9enable_ifIXsr10test_utilsE35device_test_enabled_for_warp_size_vIXT2_EEEvE4typeEPT_PT0_S5_
	.p2align	8
	.type	_Z33tail_segmented_warp_reduce_kernelI6__halfhLj32ELj8EENSt9enable_ifIXsr10test_utilsE35device_test_enabled_for_warp_size_vIXT2_EEEvE4typeEPT_PT0_S5_,@function
_Z33tail_segmented_warp_reduce_kernelI6__halfhLj32ELj8EENSt9enable_ifIXsr10test_utilsE35device_test_enabled_for_warp_size_vIXT2_EEEvE4typeEPT_PT0_S5_: ; @_Z33tail_segmented_warp_reduce_kernelI6__halfhLj32ELj8EENSt9enable_ifIXsr10test_utilsE35device_test_enabled_for_warp_size_vIXT2_EEEvE4typeEPT_PT0_S5_
; %bb.0:
	s_load_dword s0, s[4:5], 0x24
	s_load_dwordx4 s[8:11], s[4:5], 0x0
	s_load_dwordx2 s[2:3], s[4:5], 0x10
	v_mov_b32_e32 v1, 0
	s_waitcnt lgkmcnt(0)
	s_and_b32 s0, s0, 0xffff
	s_mul_i32 s6, s6, s0
	v_add_u32_e32 v0, s6, v0
	v_lshlrev_b64 v[2:3], 1, v[0:1]
	v_mov_b32_e32 v1, s9
	global_load_ubyte v4, v0, s[10:11]
	v_add_co_u32_e32 v0, vcc, s8, v2
	v_addc_co_u32_e32 v1, vcc, v1, v3, vcc
	global_load_ushort v5, v[0:1], off
	v_mbcnt_lo_u32_b32 v0, -1, 0
	v_mbcnt_hi_u32_b32 v6, -1, v0
	v_and_b32_e32 v8, 7, v6
	v_cmp_ne_u32_e32 vcc, 7, v8
	v_addc_co_u32_e32 v9, vcc, 0, v6, vcc
	v_cmp_gt_u32_e32 vcc, 6, v8
	v_lshlrev_b64 v[0:1], v6, -1
	v_cndmask_b32_e64 v11, 0, 1, vcc
	v_and_b32_e32 v7, 0x78, v6
	v_lshlrev_b32_e32 v9, 2, v9
	v_lshlrev_b32_e32 v11, 1, v11
	v_add_lshl_u32 v11, v11, v6, 2
	v_cmp_gt_u32_e64 s[0:1], 4, v8
	v_add_u32_e32 v10, 2, v8
	v_add_u32_e32 v12, 4, v8
	s_waitcnt vmcnt(1)
	v_cmp_ne_u16_e32 vcc, 0, v4
	v_and_b32_e32 v1, vcc_hi, v1
	v_and_b32_e32 v0, vcc_lo, v0
	v_lshrrev_b64 v[0:1], v7, v[0:1]
	v_or_b32_e32 v0, 0x80, v0
	s_waitcnt vmcnt(0)
	v_and_b32_e32 v4, 0xffff, v5
	ds_bpermute_b32 v7, v9, v4
	v_ffbl_b32_e32 v1, v1
	v_add_u32_e32 v1, 32, v1
	v_ffbl_b32_e32 v0, v0
	v_min_u32_e32 v0, v0, v1
	s_waitcnt lgkmcnt(0)
	v_add_f16_e32 v1, v5, v7
	v_cmp_lt_u32_e32 vcc, v8, v0
	v_cndmask_b32_e32 v4, v4, v1, vcc
	ds_bpermute_b32 v7, v11, v4
	v_cndmask_b32_e64 v8, 0, 1, s[0:1]
	v_lshlrev_b32_e32 v8, 2, v8
	v_add_lshl_u32 v6, v8, v6, 2
	v_cndmask_b32_e32 v8, v5, v1, vcc
	s_waitcnt lgkmcnt(0)
	v_add_f16_e32 v7, v7, v8
	v_cmp_gt_u32_e64 s[0:1], v10, v0
	v_cndmask_b32_e64 v4, v7, v4, s[0:1]
	ds_bpermute_b32 v4, v6, v4
	v_cndmask_b32_e64 v1, v7, v1, s[0:1]
	v_cndmask_b32_e64 v7, v7, v8, s[0:1]
	v_cndmask_b32_e32 v1, v5, v1, vcc
	v_cmp_gt_u32_e32 vcc, v12, v0
	s_waitcnt lgkmcnt(0)
	v_add_f16_e32 v4, v4, v7
	v_mov_b32_e32 v6, s3
	v_cndmask_b32_e32 v4, v4, v1, vcc
	v_add_co_u32_e32 v0, vcc, s2, v2
	v_addc_co_u32_e32 v1, vcc, v6, v3, vcc
	global_store_short v[0:1], v4, off
	s_endpgm
	.section	.rodata,"a",@progbits
	.p2align	6, 0x0
	.amdhsa_kernel _Z33tail_segmented_warp_reduce_kernelI6__halfhLj32ELj8EENSt9enable_ifIXsr10test_utilsE35device_test_enabled_for_warp_size_vIXT2_EEEvE4typeEPT_PT0_S5_
		.amdhsa_group_segment_fixed_size 0
		.amdhsa_private_segment_fixed_size 0
		.amdhsa_kernarg_size 280
		.amdhsa_user_sgpr_count 6
		.amdhsa_user_sgpr_private_segment_buffer 1
		.amdhsa_user_sgpr_dispatch_ptr 0
		.amdhsa_user_sgpr_queue_ptr 0
		.amdhsa_user_sgpr_kernarg_segment_ptr 1
		.amdhsa_user_sgpr_dispatch_id 0
		.amdhsa_user_sgpr_flat_scratch_init 0
		.amdhsa_user_sgpr_kernarg_preload_length 0
		.amdhsa_user_sgpr_kernarg_preload_offset 0
		.amdhsa_user_sgpr_private_segment_size 0
		.amdhsa_uses_dynamic_stack 0
		.amdhsa_system_sgpr_private_segment_wavefront_offset 0
		.amdhsa_system_sgpr_workgroup_id_x 1
		.amdhsa_system_sgpr_workgroup_id_y 0
		.amdhsa_system_sgpr_workgroup_id_z 0
		.amdhsa_system_sgpr_workgroup_info 0
		.amdhsa_system_vgpr_workitem_id 0
		.amdhsa_next_free_vgpr 13
		.amdhsa_next_free_sgpr 12
		.amdhsa_accum_offset 16
		.amdhsa_reserve_vcc 1
		.amdhsa_reserve_flat_scratch 0
		.amdhsa_float_round_mode_32 0
		.amdhsa_float_round_mode_16_64 0
		.amdhsa_float_denorm_mode_32 3
		.amdhsa_float_denorm_mode_16_64 3
		.amdhsa_dx10_clamp 1
		.amdhsa_ieee_mode 1
		.amdhsa_fp16_overflow 0
		.amdhsa_tg_split 0
		.amdhsa_exception_fp_ieee_invalid_op 0
		.amdhsa_exception_fp_denorm_src 0
		.amdhsa_exception_fp_ieee_div_zero 0
		.amdhsa_exception_fp_ieee_overflow 0
		.amdhsa_exception_fp_ieee_underflow 0
		.amdhsa_exception_fp_ieee_inexact 0
		.amdhsa_exception_int_div_zero 0
	.end_amdhsa_kernel
	.section	.text._Z33tail_segmented_warp_reduce_kernelI6__halfhLj32ELj8EENSt9enable_ifIXsr10test_utilsE35device_test_enabled_for_warp_size_vIXT2_EEEvE4typeEPT_PT0_S5_,"axG",@progbits,_Z33tail_segmented_warp_reduce_kernelI6__halfhLj32ELj8EENSt9enable_ifIXsr10test_utilsE35device_test_enabled_for_warp_size_vIXT2_EEEvE4typeEPT_PT0_S5_,comdat
.Lfunc_end226:
	.size	_Z33tail_segmented_warp_reduce_kernelI6__halfhLj32ELj8EENSt9enable_ifIXsr10test_utilsE35device_test_enabled_for_warp_size_vIXT2_EEEvE4typeEPT_PT0_S5_, .Lfunc_end226-_Z33tail_segmented_warp_reduce_kernelI6__halfhLj32ELj8EENSt9enable_ifIXsr10test_utilsE35device_test_enabled_for_warp_size_vIXT2_EEEvE4typeEPT_PT0_S5_
                                        ; -- End function
	.section	.AMDGPU.csdata,"",@progbits
; Kernel info:
; codeLenInByte = 380
; NumSgprs: 16
; NumVgprs: 13
; NumAgprs: 0
; TotalNumVgprs: 13
; ScratchSize: 0
; MemoryBound: 0
; FloatMode: 240
; IeeeMode: 1
; LDSByteSize: 0 bytes/workgroup (compile time only)
; SGPRBlocks: 1
; VGPRBlocks: 1
; NumSGPRsForWavesPerEU: 16
; NumVGPRsForWavesPerEU: 13
; AccumOffset: 16
; Occupancy: 8
; WaveLimiterHint : 0
; COMPUTE_PGM_RSRC2:SCRATCH_EN: 0
; COMPUTE_PGM_RSRC2:USER_SGPR: 6
; COMPUTE_PGM_RSRC2:TRAP_HANDLER: 0
; COMPUTE_PGM_RSRC2:TGID_X_EN: 1
; COMPUTE_PGM_RSRC2:TGID_Y_EN: 0
; COMPUTE_PGM_RSRC2:TGID_Z_EN: 0
; COMPUTE_PGM_RSRC2:TIDIG_COMP_CNT: 0
; COMPUTE_PGM_RSRC3_GFX90A:ACCUM_OFFSET: 3
; COMPUTE_PGM_RSRC3_GFX90A:TG_SPLIT: 0
	.section	.text._Z33tail_segmented_warp_reduce_kernelI6__halfhLj64ELj8EENSt9enable_ifIXsr10test_utilsE35device_test_enabled_for_warp_size_vIXT2_EEEvE4typeEPT_PT0_S5_,"axG",@progbits,_Z33tail_segmented_warp_reduce_kernelI6__halfhLj64ELj8EENSt9enable_ifIXsr10test_utilsE35device_test_enabled_for_warp_size_vIXT2_EEEvE4typeEPT_PT0_S5_,comdat
	.protected	_Z33tail_segmented_warp_reduce_kernelI6__halfhLj64ELj8EENSt9enable_ifIXsr10test_utilsE35device_test_enabled_for_warp_size_vIXT2_EEEvE4typeEPT_PT0_S5_ ; -- Begin function _Z33tail_segmented_warp_reduce_kernelI6__halfhLj64ELj8EENSt9enable_ifIXsr10test_utilsE35device_test_enabled_for_warp_size_vIXT2_EEEvE4typeEPT_PT0_S5_
	.globl	_Z33tail_segmented_warp_reduce_kernelI6__halfhLj64ELj8EENSt9enable_ifIXsr10test_utilsE35device_test_enabled_for_warp_size_vIXT2_EEEvE4typeEPT_PT0_S5_
	.p2align	8
	.type	_Z33tail_segmented_warp_reduce_kernelI6__halfhLj64ELj8EENSt9enable_ifIXsr10test_utilsE35device_test_enabled_for_warp_size_vIXT2_EEEvE4typeEPT_PT0_S5_,@function
_Z33tail_segmented_warp_reduce_kernelI6__halfhLj64ELj8EENSt9enable_ifIXsr10test_utilsE35device_test_enabled_for_warp_size_vIXT2_EEEvE4typeEPT_PT0_S5_: ; @_Z33tail_segmented_warp_reduce_kernelI6__halfhLj64ELj8EENSt9enable_ifIXsr10test_utilsE35device_test_enabled_for_warp_size_vIXT2_EEEvE4typeEPT_PT0_S5_
; %bb.0:
	s_load_dword s0, s[4:5], 0x24
	s_load_dwordx4 s[8:11], s[4:5], 0x0
	s_load_dwordx2 s[2:3], s[4:5], 0x10
	v_mov_b32_e32 v1, 0
	s_waitcnt lgkmcnt(0)
	s_and_b32 s0, s0, 0xffff
	s_mul_i32 s6, s6, s0
	v_add_u32_e32 v0, s6, v0
	v_lshlrev_b64 v[2:3], 1, v[0:1]
	v_mov_b32_e32 v1, s9
	global_load_ubyte v4, v0, s[10:11]
	v_add_co_u32_e32 v0, vcc, s8, v2
	v_addc_co_u32_e32 v1, vcc, v1, v3, vcc
	global_load_ushort v5, v[0:1], off
	v_mbcnt_lo_u32_b32 v0, -1, 0
	v_mbcnt_hi_u32_b32 v6, -1, v0
	v_and_b32_e32 v8, 7, v6
	v_cmp_ne_u32_e32 vcc, 7, v8
	v_addc_co_u32_e32 v9, vcc, 0, v6, vcc
	v_cmp_gt_u32_e32 vcc, 6, v8
	v_lshlrev_b64 v[0:1], v6, -1
	v_cndmask_b32_e64 v11, 0, 1, vcc
	v_and_b32_e32 v7, 0x78, v6
	v_lshlrev_b32_e32 v9, 2, v9
	v_lshlrev_b32_e32 v11, 1, v11
	v_add_lshl_u32 v11, v11, v6, 2
	v_cmp_gt_u32_e64 s[0:1], 4, v8
	v_add_u32_e32 v10, 2, v8
	v_add_u32_e32 v12, 4, v8
	s_waitcnt vmcnt(1)
	v_cmp_ne_u16_e32 vcc, 0, v4
	v_and_b32_e32 v1, vcc_hi, v1
	v_and_b32_e32 v0, vcc_lo, v0
	v_lshrrev_b64 v[0:1], v7, v[0:1]
	v_or_b32_e32 v0, 0x80, v0
	s_waitcnt vmcnt(0)
	v_and_b32_e32 v4, 0xffff, v5
	ds_bpermute_b32 v7, v9, v4
	v_ffbl_b32_e32 v1, v1
	v_add_u32_e32 v1, 32, v1
	v_ffbl_b32_e32 v0, v0
	v_min_u32_e32 v0, v0, v1
	s_waitcnt lgkmcnt(0)
	v_add_f16_e32 v1, v5, v7
	v_cmp_lt_u32_e32 vcc, v8, v0
	v_cndmask_b32_e32 v4, v4, v1, vcc
	ds_bpermute_b32 v7, v11, v4
	v_cndmask_b32_e64 v8, 0, 1, s[0:1]
	v_lshlrev_b32_e32 v8, 2, v8
	v_add_lshl_u32 v6, v8, v6, 2
	v_cndmask_b32_e32 v8, v5, v1, vcc
	s_waitcnt lgkmcnt(0)
	v_add_f16_e32 v7, v7, v8
	v_cmp_gt_u32_e64 s[0:1], v10, v0
	v_cndmask_b32_e64 v4, v7, v4, s[0:1]
	ds_bpermute_b32 v4, v6, v4
	v_cndmask_b32_e64 v1, v7, v1, s[0:1]
	v_cndmask_b32_e64 v7, v7, v8, s[0:1]
	v_cndmask_b32_e32 v1, v5, v1, vcc
	v_cmp_gt_u32_e32 vcc, v12, v0
	s_waitcnt lgkmcnt(0)
	v_add_f16_e32 v4, v4, v7
	v_mov_b32_e32 v6, s3
	v_cndmask_b32_e32 v4, v4, v1, vcc
	v_add_co_u32_e32 v0, vcc, s2, v2
	v_addc_co_u32_e32 v1, vcc, v6, v3, vcc
	global_store_short v[0:1], v4, off
	s_endpgm
	.section	.rodata,"a",@progbits
	.p2align	6, 0x0
	.amdhsa_kernel _Z33tail_segmented_warp_reduce_kernelI6__halfhLj64ELj8EENSt9enable_ifIXsr10test_utilsE35device_test_enabled_for_warp_size_vIXT2_EEEvE4typeEPT_PT0_S5_
		.amdhsa_group_segment_fixed_size 0
		.amdhsa_private_segment_fixed_size 0
		.amdhsa_kernarg_size 280
		.amdhsa_user_sgpr_count 6
		.amdhsa_user_sgpr_private_segment_buffer 1
		.amdhsa_user_sgpr_dispatch_ptr 0
		.amdhsa_user_sgpr_queue_ptr 0
		.amdhsa_user_sgpr_kernarg_segment_ptr 1
		.amdhsa_user_sgpr_dispatch_id 0
		.amdhsa_user_sgpr_flat_scratch_init 0
		.amdhsa_user_sgpr_kernarg_preload_length 0
		.amdhsa_user_sgpr_kernarg_preload_offset 0
		.amdhsa_user_sgpr_private_segment_size 0
		.amdhsa_uses_dynamic_stack 0
		.amdhsa_system_sgpr_private_segment_wavefront_offset 0
		.amdhsa_system_sgpr_workgroup_id_x 1
		.amdhsa_system_sgpr_workgroup_id_y 0
		.amdhsa_system_sgpr_workgroup_id_z 0
		.amdhsa_system_sgpr_workgroup_info 0
		.amdhsa_system_vgpr_workitem_id 0
		.amdhsa_next_free_vgpr 13
		.amdhsa_next_free_sgpr 12
		.amdhsa_accum_offset 16
		.amdhsa_reserve_vcc 1
		.amdhsa_reserve_flat_scratch 0
		.amdhsa_float_round_mode_32 0
		.amdhsa_float_round_mode_16_64 0
		.amdhsa_float_denorm_mode_32 3
		.amdhsa_float_denorm_mode_16_64 3
		.amdhsa_dx10_clamp 1
		.amdhsa_ieee_mode 1
		.amdhsa_fp16_overflow 0
		.amdhsa_tg_split 0
		.amdhsa_exception_fp_ieee_invalid_op 0
		.amdhsa_exception_fp_denorm_src 0
		.amdhsa_exception_fp_ieee_div_zero 0
		.amdhsa_exception_fp_ieee_overflow 0
		.amdhsa_exception_fp_ieee_underflow 0
		.amdhsa_exception_fp_ieee_inexact 0
		.amdhsa_exception_int_div_zero 0
	.end_amdhsa_kernel
	.section	.text._Z33tail_segmented_warp_reduce_kernelI6__halfhLj64ELj8EENSt9enable_ifIXsr10test_utilsE35device_test_enabled_for_warp_size_vIXT2_EEEvE4typeEPT_PT0_S5_,"axG",@progbits,_Z33tail_segmented_warp_reduce_kernelI6__halfhLj64ELj8EENSt9enable_ifIXsr10test_utilsE35device_test_enabled_for_warp_size_vIXT2_EEEvE4typeEPT_PT0_S5_,comdat
.Lfunc_end227:
	.size	_Z33tail_segmented_warp_reduce_kernelI6__halfhLj64ELj8EENSt9enable_ifIXsr10test_utilsE35device_test_enabled_for_warp_size_vIXT2_EEEvE4typeEPT_PT0_S5_, .Lfunc_end227-_Z33tail_segmented_warp_reduce_kernelI6__halfhLj64ELj8EENSt9enable_ifIXsr10test_utilsE35device_test_enabled_for_warp_size_vIXT2_EEEvE4typeEPT_PT0_S5_
                                        ; -- End function
	.section	.AMDGPU.csdata,"",@progbits
; Kernel info:
; codeLenInByte = 380
; NumSgprs: 16
; NumVgprs: 13
; NumAgprs: 0
; TotalNumVgprs: 13
; ScratchSize: 0
; MemoryBound: 0
; FloatMode: 240
; IeeeMode: 1
; LDSByteSize: 0 bytes/workgroup (compile time only)
; SGPRBlocks: 1
; VGPRBlocks: 1
; NumSGPRsForWavesPerEU: 16
; NumVGPRsForWavesPerEU: 13
; AccumOffset: 16
; Occupancy: 8
; WaveLimiterHint : 0
; COMPUTE_PGM_RSRC2:SCRATCH_EN: 0
; COMPUTE_PGM_RSRC2:USER_SGPR: 6
; COMPUTE_PGM_RSRC2:TRAP_HANDLER: 0
; COMPUTE_PGM_RSRC2:TGID_X_EN: 1
; COMPUTE_PGM_RSRC2:TGID_Y_EN: 0
; COMPUTE_PGM_RSRC2:TGID_Z_EN: 0
; COMPUTE_PGM_RSRC2:TIDIG_COMP_CNT: 0
; COMPUTE_PGM_RSRC3_GFX90A:ACCUM_OFFSET: 3
; COMPUTE_PGM_RSRC3_GFX90A:TG_SPLIT: 0
	.section	.text._Z33tail_segmented_warp_reduce_kernelI6__halfhLj32ELj4EENSt9enable_ifIXsr10test_utilsE35device_test_enabled_for_warp_size_vIXT2_EEEvE4typeEPT_PT0_S5_,"axG",@progbits,_Z33tail_segmented_warp_reduce_kernelI6__halfhLj32ELj4EENSt9enable_ifIXsr10test_utilsE35device_test_enabled_for_warp_size_vIXT2_EEEvE4typeEPT_PT0_S5_,comdat
	.protected	_Z33tail_segmented_warp_reduce_kernelI6__halfhLj32ELj4EENSt9enable_ifIXsr10test_utilsE35device_test_enabled_for_warp_size_vIXT2_EEEvE4typeEPT_PT0_S5_ ; -- Begin function _Z33tail_segmented_warp_reduce_kernelI6__halfhLj32ELj4EENSt9enable_ifIXsr10test_utilsE35device_test_enabled_for_warp_size_vIXT2_EEEvE4typeEPT_PT0_S5_
	.globl	_Z33tail_segmented_warp_reduce_kernelI6__halfhLj32ELj4EENSt9enable_ifIXsr10test_utilsE35device_test_enabled_for_warp_size_vIXT2_EEEvE4typeEPT_PT0_S5_
	.p2align	8
	.type	_Z33tail_segmented_warp_reduce_kernelI6__halfhLj32ELj4EENSt9enable_ifIXsr10test_utilsE35device_test_enabled_for_warp_size_vIXT2_EEEvE4typeEPT_PT0_S5_,@function
_Z33tail_segmented_warp_reduce_kernelI6__halfhLj32ELj4EENSt9enable_ifIXsr10test_utilsE35device_test_enabled_for_warp_size_vIXT2_EEEvE4typeEPT_PT0_S5_: ; @_Z33tail_segmented_warp_reduce_kernelI6__halfhLj32ELj4EENSt9enable_ifIXsr10test_utilsE35device_test_enabled_for_warp_size_vIXT2_EEEvE4typeEPT_PT0_S5_
; %bb.0:
	s_load_dword s7, s[4:5], 0x24
	s_load_dwordx4 s[0:3], s[4:5], 0x0
	s_load_dwordx2 s[8:9], s[4:5], 0x10
	v_mov_b32_e32 v1, 0
	s_waitcnt lgkmcnt(0)
	s_and_b32 s4, s7, 0xffff
	s_mul_i32 s6, s6, s4
	v_add_u32_e32 v0, s6, v0
	v_lshlrev_b64 v[2:3], 1, v[0:1]
	v_mov_b32_e32 v1, s1
	global_load_ubyte v4, v0, s[2:3]
	v_add_co_u32_e32 v0, vcc, s0, v2
	v_addc_co_u32_e32 v1, vcc, v1, v3, vcc
	global_load_ushort v5, v[0:1], off
	v_mbcnt_lo_u32_b32 v0, -1, 0
	v_mbcnt_hi_u32_b32 v6, -1, v0
	v_and_b32_e32 v8, 3, v6
	v_cmp_ne_u32_e32 vcc, 3, v8
	v_addc_co_u32_e32 v9, vcc, 0, v6, vcc
	v_cmp_gt_u32_e32 vcc, 2, v8
	v_lshlrev_b64 v[0:1], v6, -1
	v_cndmask_b32_e64 v10, 0, 1, vcc
	v_and_b32_e32 v7, 0x7c, v6
	v_lshlrev_b32_e32 v9, 2, v9
	v_lshlrev_b32_e32 v10, 1, v10
	v_add_lshl_u32 v6, v10, v6, 2
	s_waitcnt vmcnt(1)
	v_cmp_ne_u16_e32 vcc, 0, v4
	v_and_b32_e32 v1, vcc_hi, v1
	v_and_b32_e32 v0, vcc_lo, v0
	v_lshrrev_b64 v[0:1], v7, v[0:1]
	v_or_b32_e32 v0, 8, v0
	s_waitcnt vmcnt(0)
	v_and_b32_e32 v4, 0xffff, v5
	ds_bpermute_b32 v7, v9, v4
	v_ffbl_b32_e32 v1, v1
	v_add_u32_e32 v1, 32, v1
	v_ffbl_b32_e32 v0, v0
	v_min_u32_e32 v0, v0, v1
	s_waitcnt lgkmcnt(0)
	v_add_f16_e32 v1, v5, v7
	v_cmp_lt_u32_e32 vcc, v8, v0
	v_cndmask_b32_e32 v4, v4, v1, vcc
	ds_bpermute_b32 v4, v6, v4
	v_add_u32_e32 v6, 2, v8
	v_cmp_gt_u32_e64 s[0:1], v6, v0
	v_mov_b32_e32 v7, s9
	s_waitcnt lgkmcnt(0)
	v_add_f16_e32 v4, v1, v4
	v_cndmask_b32_e64 v0, v4, v1, s[0:1]
	v_cndmask_b32_e32 v4, v5, v0, vcc
	v_add_co_u32_e32 v0, vcc, s8, v2
	v_addc_co_u32_e32 v1, vcc, v7, v3, vcc
	global_store_short v[0:1], v4, off
	s_endpgm
	.section	.rodata,"a",@progbits
	.p2align	6, 0x0
	.amdhsa_kernel _Z33tail_segmented_warp_reduce_kernelI6__halfhLj32ELj4EENSt9enable_ifIXsr10test_utilsE35device_test_enabled_for_warp_size_vIXT2_EEEvE4typeEPT_PT0_S5_
		.amdhsa_group_segment_fixed_size 0
		.amdhsa_private_segment_fixed_size 0
		.amdhsa_kernarg_size 280
		.amdhsa_user_sgpr_count 6
		.amdhsa_user_sgpr_private_segment_buffer 1
		.amdhsa_user_sgpr_dispatch_ptr 0
		.amdhsa_user_sgpr_queue_ptr 0
		.amdhsa_user_sgpr_kernarg_segment_ptr 1
		.amdhsa_user_sgpr_dispatch_id 0
		.amdhsa_user_sgpr_flat_scratch_init 0
		.amdhsa_user_sgpr_kernarg_preload_length 0
		.amdhsa_user_sgpr_kernarg_preload_offset 0
		.amdhsa_user_sgpr_private_segment_size 0
		.amdhsa_uses_dynamic_stack 0
		.amdhsa_system_sgpr_private_segment_wavefront_offset 0
		.amdhsa_system_sgpr_workgroup_id_x 1
		.amdhsa_system_sgpr_workgroup_id_y 0
		.amdhsa_system_sgpr_workgroup_id_z 0
		.amdhsa_system_sgpr_workgroup_info 0
		.amdhsa_system_vgpr_workitem_id 0
		.amdhsa_next_free_vgpr 11
		.amdhsa_next_free_sgpr 10
		.amdhsa_accum_offset 12
		.amdhsa_reserve_vcc 1
		.amdhsa_reserve_flat_scratch 0
		.amdhsa_float_round_mode_32 0
		.amdhsa_float_round_mode_16_64 0
		.amdhsa_float_denorm_mode_32 3
		.amdhsa_float_denorm_mode_16_64 3
		.amdhsa_dx10_clamp 1
		.amdhsa_ieee_mode 1
		.amdhsa_fp16_overflow 0
		.amdhsa_tg_split 0
		.amdhsa_exception_fp_ieee_invalid_op 0
		.amdhsa_exception_fp_denorm_src 0
		.amdhsa_exception_fp_ieee_div_zero 0
		.amdhsa_exception_fp_ieee_overflow 0
		.amdhsa_exception_fp_ieee_underflow 0
		.amdhsa_exception_fp_ieee_inexact 0
		.amdhsa_exception_int_div_zero 0
	.end_amdhsa_kernel
	.section	.text._Z33tail_segmented_warp_reduce_kernelI6__halfhLj32ELj4EENSt9enable_ifIXsr10test_utilsE35device_test_enabled_for_warp_size_vIXT2_EEEvE4typeEPT_PT0_S5_,"axG",@progbits,_Z33tail_segmented_warp_reduce_kernelI6__halfhLj32ELj4EENSt9enable_ifIXsr10test_utilsE35device_test_enabled_for_warp_size_vIXT2_EEEvE4typeEPT_PT0_S5_,comdat
.Lfunc_end228:
	.size	_Z33tail_segmented_warp_reduce_kernelI6__halfhLj32ELj4EENSt9enable_ifIXsr10test_utilsE35device_test_enabled_for_warp_size_vIXT2_EEEvE4typeEPT_PT0_S5_, .Lfunc_end228-_Z33tail_segmented_warp_reduce_kernelI6__halfhLj32ELj4EENSt9enable_ifIXsr10test_utilsE35device_test_enabled_for_warp_size_vIXT2_EEEvE4typeEPT_PT0_S5_
                                        ; -- End function
	.section	.AMDGPU.csdata,"",@progbits
; Kernel info:
; codeLenInByte = 300
; NumSgprs: 14
; NumVgprs: 11
; NumAgprs: 0
; TotalNumVgprs: 11
; ScratchSize: 0
; MemoryBound: 0
; FloatMode: 240
; IeeeMode: 1
; LDSByteSize: 0 bytes/workgroup (compile time only)
; SGPRBlocks: 1
; VGPRBlocks: 1
; NumSGPRsForWavesPerEU: 14
; NumVGPRsForWavesPerEU: 11
; AccumOffset: 12
; Occupancy: 8
; WaveLimiterHint : 0
; COMPUTE_PGM_RSRC2:SCRATCH_EN: 0
; COMPUTE_PGM_RSRC2:USER_SGPR: 6
; COMPUTE_PGM_RSRC2:TRAP_HANDLER: 0
; COMPUTE_PGM_RSRC2:TGID_X_EN: 1
; COMPUTE_PGM_RSRC2:TGID_Y_EN: 0
; COMPUTE_PGM_RSRC2:TGID_Z_EN: 0
; COMPUTE_PGM_RSRC2:TIDIG_COMP_CNT: 0
; COMPUTE_PGM_RSRC3_GFX90A:ACCUM_OFFSET: 2
; COMPUTE_PGM_RSRC3_GFX90A:TG_SPLIT: 0
	.section	.text._Z33tail_segmented_warp_reduce_kernelI6__halfhLj64ELj4EENSt9enable_ifIXsr10test_utilsE35device_test_enabled_for_warp_size_vIXT2_EEEvE4typeEPT_PT0_S5_,"axG",@progbits,_Z33tail_segmented_warp_reduce_kernelI6__halfhLj64ELj4EENSt9enable_ifIXsr10test_utilsE35device_test_enabled_for_warp_size_vIXT2_EEEvE4typeEPT_PT0_S5_,comdat
	.protected	_Z33tail_segmented_warp_reduce_kernelI6__halfhLj64ELj4EENSt9enable_ifIXsr10test_utilsE35device_test_enabled_for_warp_size_vIXT2_EEEvE4typeEPT_PT0_S5_ ; -- Begin function _Z33tail_segmented_warp_reduce_kernelI6__halfhLj64ELj4EENSt9enable_ifIXsr10test_utilsE35device_test_enabled_for_warp_size_vIXT2_EEEvE4typeEPT_PT0_S5_
	.globl	_Z33tail_segmented_warp_reduce_kernelI6__halfhLj64ELj4EENSt9enable_ifIXsr10test_utilsE35device_test_enabled_for_warp_size_vIXT2_EEEvE4typeEPT_PT0_S5_
	.p2align	8
	.type	_Z33tail_segmented_warp_reduce_kernelI6__halfhLj64ELj4EENSt9enable_ifIXsr10test_utilsE35device_test_enabled_for_warp_size_vIXT2_EEEvE4typeEPT_PT0_S5_,@function
_Z33tail_segmented_warp_reduce_kernelI6__halfhLj64ELj4EENSt9enable_ifIXsr10test_utilsE35device_test_enabled_for_warp_size_vIXT2_EEEvE4typeEPT_PT0_S5_: ; @_Z33tail_segmented_warp_reduce_kernelI6__halfhLj64ELj4EENSt9enable_ifIXsr10test_utilsE35device_test_enabled_for_warp_size_vIXT2_EEEvE4typeEPT_PT0_S5_
; %bb.0:
	s_load_dword s7, s[4:5], 0x24
	s_load_dwordx4 s[0:3], s[4:5], 0x0
	s_load_dwordx2 s[8:9], s[4:5], 0x10
	v_mov_b32_e32 v1, 0
	s_waitcnt lgkmcnt(0)
	s_and_b32 s4, s7, 0xffff
	s_mul_i32 s6, s6, s4
	v_add_u32_e32 v0, s6, v0
	v_lshlrev_b64 v[2:3], 1, v[0:1]
	v_mov_b32_e32 v1, s1
	global_load_ubyte v4, v0, s[2:3]
	v_add_co_u32_e32 v0, vcc, s0, v2
	v_addc_co_u32_e32 v1, vcc, v1, v3, vcc
	global_load_ushort v5, v[0:1], off
	v_mbcnt_lo_u32_b32 v0, -1, 0
	v_mbcnt_hi_u32_b32 v6, -1, v0
	v_and_b32_e32 v8, 3, v6
	v_cmp_ne_u32_e32 vcc, 3, v8
	v_addc_co_u32_e32 v9, vcc, 0, v6, vcc
	v_cmp_gt_u32_e32 vcc, 2, v8
	v_lshlrev_b64 v[0:1], v6, -1
	v_cndmask_b32_e64 v10, 0, 1, vcc
	v_and_b32_e32 v7, 0x7c, v6
	v_lshlrev_b32_e32 v9, 2, v9
	v_lshlrev_b32_e32 v10, 1, v10
	v_add_lshl_u32 v6, v10, v6, 2
	s_waitcnt vmcnt(1)
	v_cmp_ne_u16_e32 vcc, 0, v4
	v_and_b32_e32 v1, vcc_hi, v1
	v_and_b32_e32 v0, vcc_lo, v0
	v_lshrrev_b64 v[0:1], v7, v[0:1]
	v_or_b32_e32 v0, 8, v0
	s_waitcnt vmcnt(0)
	v_and_b32_e32 v4, 0xffff, v5
	ds_bpermute_b32 v7, v9, v4
	v_ffbl_b32_e32 v1, v1
	v_add_u32_e32 v1, 32, v1
	v_ffbl_b32_e32 v0, v0
	v_min_u32_e32 v0, v0, v1
	s_waitcnt lgkmcnt(0)
	v_add_f16_e32 v1, v5, v7
	v_cmp_lt_u32_e32 vcc, v8, v0
	v_cndmask_b32_e32 v4, v4, v1, vcc
	ds_bpermute_b32 v4, v6, v4
	v_add_u32_e32 v6, 2, v8
	v_cmp_gt_u32_e64 s[0:1], v6, v0
	v_mov_b32_e32 v7, s9
	s_waitcnt lgkmcnt(0)
	v_add_f16_e32 v4, v1, v4
	v_cndmask_b32_e64 v0, v4, v1, s[0:1]
	v_cndmask_b32_e32 v4, v5, v0, vcc
	v_add_co_u32_e32 v0, vcc, s8, v2
	v_addc_co_u32_e32 v1, vcc, v7, v3, vcc
	global_store_short v[0:1], v4, off
	s_endpgm
	.section	.rodata,"a",@progbits
	.p2align	6, 0x0
	.amdhsa_kernel _Z33tail_segmented_warp_reduce_kernelI6__halfhLj64ELj4EENSt9enable_ifIXsr10test_utilsE35device_test_enabled_for_warp_size_vIXT2_EEEvE4typeEPT_PT0_S5_
		.amdhsa_group_segment_fixed_size 0
		.amdhsa_private_segment_fixed_size 0
		.amdhsa_kernarg_size 280
		.amdhsa_user_sgpr_count 6
		.amdhsa_user_sgpr_private_segment_buffer 1
		.amdhsa_user_sgpr_dispatch_ptr 0
		.amdhsa_user_sgpr_queue_ptr 0
		.amdhsa_user_sgpr_kernarg_segment_ptr 1
		.amdhsa_user_sgpr_dispatch_id 0
		.amdhsa_user_sgpr_flat_scratch_init 0
		.amdhsa_user_sgpr_kernarg_preload_length 0
		.amdhsa_user_sgpr_kernarg_preload_offset 0
		.amdhsa_user_sgpr_private_segment_size 0
		.amdhsa_uses_dynamic_stack 0
		.amdhsa_system_sgpr_private_segment_wavefront_offset 0
		.amdhsa_system_sgpr_workgroup_id_x 1
		.amdhsa_system_sgpr_workgroup_id_y 0
		.amdhsa_system_sgpr_workgroup_id_z 0
		.amdhsa_system_sgpr_workgroup_info 0
		.amdhsa_system_vgpr_workitem_id 0
		.amdhsa_next_free_vgpr 11
		.amdhsa_next_free_sgpr 10
		.amdhsa_accum_offset 12
		.amdhsa_reserve_vcc 1
		.amdhsa_reserve_flat_scratch 0
		.amdhsa_float_round_mode_32 0
		.amdhsa_float_round_mode_16_64 0
		.amdhsa_float_denorm_mode_32 3
		.amdhsa_float_denorm_mode_16_64 3
		.amdhsa_dx10_clamp 1
		.amdhsa_ieee_mode 1
		.amdhsa_fp16_overflow 0
		.amdhsa_tg_split 0
		.amdhsa_exception_fp_ieee_invalid_op 0
		.amdhsa_exception_fp_denorm_src 0
		.amdhsa_exception_fp_ieee_div_zero 0
		.amdhsa_exception_fp_ieee_overflow 0
		.amdhsa_exception_fp_ieee_underflow 0
		.amdhsa_exception_fp_ieee_inexact 0
		.amdhsa_exception_int_div_zero 0
	.end_amdhsa_kernel
	.section	.text._Z33tail_segmented_warp_reduce_kernelI6__halfhLj64ELj4EENSt9enable_ifIXsr10test_utilsE35device_test_enabled_for_warp_size_vIXT2_EEEvE4typeEPT_PT0_S5_,"axG",@progbits,_Z33tail_segmented_warp_reduce_kernelI6__halfhLj64ELj4EENSt9enable_ifIXsr10test_utilsE35device_test_enabled_for_warp_size_vIXT2_EEEvE4typeEPT_PT0_S5_,comdat
.Lfunc_end229:
	.size	_Z33tail_segmented_warp_reduce_kernelI6__halfhLj64ELj4EENSt9enable_ifIXsr10test_utilsE35device_test_enabled_for_warp_size_vIXT2_EEEvE4typeEPT_PT0_S5_, .Lfunc_end229-_Z33tail_segmented_warp_reduce_kernelI6__halfhLj64ELj4EENSt9enable_ifIXsr10test_utilsE35device_test_enabled_for_warp_size_vIXT2_EEEvE4typeEPT_PT0_S5_
                                        ; -- End function
	.section	.AMDGPU.csdata,"",@progbits
; Kernel info:
; codeLenInByte = 300
; NumSgprs: 14
; NumVgprs: 11
; NumAgprs: 0
; TotalNumVgprs: 11
; ScratchSize: 0
; MemoryBound: 0
; FloatMode: 240
; IeeeMode: 1
; LDSByteSize: 0 bytes/workgroup (compile time only)
; SGPRBlocks: 1
; VGPRBlocks: 1
; NumSGPRsForWavesPerEU: 14
; NumVGPRsForWavesPerEU: 11
; AccumOffset: 12
; Occupancy: 8
; WaveLimiterHint : 0
; COMPUTE_PGM_RSRC2:SCRATCH_EN: 0
; COMPUTE_PGM_RSRC2:USER_SGPR: 6
; COMPUTE_PGM_RSRC2:TRAP_HANDLER: 0
; COMPUTE_PGM_RSRC2:TGID_X_EN: 1
; COMPUTE_PGM_RSRC2:TGID_Y_EN: 0
; COMPUTE_PGM_RSRC2:TGID_Z_EN: 0
; COMPUTE_PGM_RSRC2:TIDIG_COMP_CNT: 0
; COMPUTE_PGM_RSRC3_GFX90A:ACCUM_OFFSET: 2
; COMPUTE_PGM_RSRC3_GFX90A:TG_SPLIT: 0
	.section	.text._Z33tail_segmented_warp_reduce_kernelI6__halfhLj32ELj2EENSt9enable_ifIXsr10test_utilsE35device_test_enabled_for_warp_size_vIXT2_EEEvE4typeEPT_PT0_S5_,"axG",@progbits,_Z33tail_segmented_warp_reduce_kernelI6__halfhLj32ELj2EENSt9enable_ifIXsr10test_utilsE35device_test_enabled_for_warp_size_vIXT2_EEEvE4typeEPT_PT0_S5_,comdat
	.protected	_Z33tail_segmented_warp_reduce_kernelI6__halfhLj32ELj2EENSt9enable_ifIXsr10test_utilsE35device_test_enabled_for_warp_size_vIXT2_EEEvE4typeEPT_PT0_S5_ ; -- Begin function _Z33tail_segmented_warp_reduce_kernelI6__halfhLj32ELj2EENSt9enable_ifIXsr10test_utilsE35device_test_enabled_for_warp_size_vIXT2_EEEvE4typeEPT_PT0_S5_
	.globl	_Z33tail_segmented_warp_reduce_kernelI6__halfhLj32ELj2EENSt9enable_ifIXsr10test_utilsE35device_test_enabled_for_warp_size_vIXT2_EEEvE4typeEPT_PT0_S5_
	.p2align	8
	.type	_Z33tail_segmented_warp_reduce_kernelI6__halfhLj32ELj2EENSt9enable_ifIXsr10test_utilsE35device_test_enabled_for_warp_size_vIXT2_EEEvE4typeEPT_PT0_S5_,@function
_Z33tail_segmented_warp_reduce_kernelI6__halfhLj32ELj2EENSt9enable_ifIXsr10test_utilsE35device_test_enabled_for_warp_size_vIXT2_EEEvE4typeEPT_PT0_S5_: ; @_Z33tail_segmented_warp_reduce_kernelI6__halfhLj32ELj2EENSt9enable_ifIXsr10test_utilsE35device_test_enabled_for_warp_size_vIXT2_EEEvE4typeEPT_PT0_S5_
; %bb.0:
	s_load_dword s7, s[4:5], 0x24
	s_load_dwordx4 s[0:3], s[4:5], 0x0
	s_load_dwordx2 s[8:9], s[4:5], 0x10
	v_mov_b32_e32 v1, 0
	s_waitcnt lgkmcnt(0)
	s_and_b32 s4, s7, 0xffff
	s_mul_i32 s6, s6, s4
	v_add_u32_e32 v0, s6, v0
	v_lshlrev_b64 v[2:3], 1, v[0:1]
	v_mov_b32_e32 v1, s1
	global_load_ubyte v4, v0, s[2:3]
	v_add_co_u32_e32 v0, vcc, s0, v2
	v_addc_co_u32_e32 v1, vcc, v1, v3, vcc
	global_load_ushort v5, v[0:1], off
	v_mbcnt_lo_u32_b32 v0, -1, 0
	v_mbcnt_hi_u32_b32 v6, -1, v0
	v_lshlrev_b64 v[0:1], v6, -1
	v_and_b32_e32 v7, 0x7e, v6
	v_and_b32_e32 v8, 1, v6
	v_lshl_or_b32 v6, v6, 2, 4
	v_mov_b32_e32 v9, s9
	s_waitcnt vmcnt(1)
	v_cmp_ne_u16_e32 vcc, 0, v4
	v_and_b32_e32 v1, vcc_hi, v1
	v_and_b32_e32 v0, vcc_lo, v0
	v_lshrrev_b64 v[0:1], v7, v[0:1]
	v_or_b32_e32 v0, 2, v0
	s_waitcnt vmcnt(0)
	v_and_b32_e32 v4, 0xffff, v5
	ds_bpermute_b32 v4, v6, v4
	v_ffbl_b32_e32 v1, v1
	v_add_u32_e32 v1, 32, v1
	v_ffbl_b32_e32 v0, v0
	v_min_u32_e32 v0, v0, v1
	s_waitcnt lgkmcnt(0)
	v_add_f16_e32 v1, v5, v4
	v_cmp_lt_u32_e32 vcc, v8, v0
	v_cndmask_b32_e32 v4, v5, v1, vcc
	v_add_co_u32_e32 v0, vcc, s8, v2
	v_addc_co_u32_e32 v1, vcc, v9, v3, vcc
	global_store_short v[0:1], v4, off
	s_endpgm
	.section	.rodata,"a",@progbits
	.p2align	6, 0x0
	.amdhsa_kernel _Z33tail_segmented_warp_reduce_kernelI6__halfhLj32ELj2EENSt9enable_ifIXsr10test_utilsE35device_test_enabled_for_warp_size_vIXT2_EEEvE4typeEPT_PT0_S5_
		.amdhsa_group_segment_fixed_size 0
		.amdhsa_private_segment_fixed_size 0
		.amdhsa_kernarg_size 280
		.amdhsa_user_sgpr_count 6
		.amdhsa_user_sgpr_private_segment_buffer 1
		.amdhsa_user_sgpr_dispatch_ptr 0
		.amdhsa_user_sgpr_queue_ptr 0
		.amdhsa_user_sgpr_kernarg_segment_ptr 1
		.amdhsa_user_sgpr_dispatch_id 0
		.amdhsa_user_sgpr_flat_scratch_init 0
		.amdhsa_user_sgpr_kernarg_preload_length 0
		.amdhsa_user_sgpr_kernarg_preload_offset 0
		.amdhsa_user_sgpr_private_segment_size 0
		.amdhsa_uses_dynamic_stack 0
		.amdhsa_system_sgpr_private_segment_wavefront_offset 0
		.amdhsa_system_sgpr_workgroup_id_x 1
		.amdhsa_system_sgpr_workgroup_id_y 0
		.amdhsa_system_sgpr_workgroup_id_z 0
		.amdhsa_system_sgpr_workgroup_info 0
		.amdhsa_system_vgpr_workitem_id 0
		.amdhsa_next_free_vgpr 10
		.amdhsa_next_free_sgpr 10
		.amdhsa_accum_offset 12
		.amdhsa_reserve_vcc 1
		.amdhsa_reserve_flat_scratch 0
		.amdhsa_float_round_mode_32 0
		.amdhsa_float_round_mode_16_64 0
		.amdhsa_float_denorm_mode_32 3
		.amdhsa_float_denorm_mode_16_64 3
		.amdhsa_dx10_clamp 1
		.amdhsa_ieee_mode 1
		.amdhsa_fp16_overflow 0
		.amdhsa_tg_split 0
		.amdhsa_exception_fp_ieee_invalid_op 0
		.amdhsa_exception_fp_denorm_src 0
		.amdhsa_exception_fp_ieee_div_zero 0
		.amdhsa_exception_fp_ieee_overflow 0
		.amdhsa_exception_fp_ieee_underflow 0
		.amdhsa_exception_fp_ieee_inexact 0
		.amdhsa_exception_int_div_zero 0
	.end_amdhsa_kernel
	.section	.text._Z33tail_segmented_warp_reduce_kernelI6__halfhLj32ELj2EENSt9enable_ifIXsr10test_utilsE35device_test_enabled_for_warp_size_vIXT2_EEEvE4typeEPT_PT0_S5_,"axG",@progbits,_Z33tail_segmented_warp_reduce_kernelI6__halfhLj32ELj2EENSt9enable_ifIXsr10test_utilsE35device_test_enabled_for_warp_size_vIXT2_EEEvE4typeEPT_PT0_S5_,comdat
.Lfunc_end230:
	.size	_Z33tail_segmented_warp_reduce_kernelI6__halfhLj32ELj2EENSt9enable_ifIXsr10test_utilsE35device_test_enabled_for_warp_size_vIXT2_EEEvE4typeEPT_PT0_S5_, .Lfunc_end230-_Z33tail_segmented_warp_reduce_kernelI6__halfhLj32ELj2EENSt9enable_ifIXsr10test_utilsE35device_test_enabled_for_warp_size_vIXT2_EEEvE4typeEPT_PT0_S5_
                                        ; -- End function
	.section	.AMDGPU.csdata,"",@progbits
; Kernel info:
; codeLenInByte = 232
; NumSgprs: 14
; NumVgprs: 10
; NumAgprs: 0
; TotalNumVgprs: 10
; ScratchSize: 0
; MemoryBound: 0
; FloatMode: 240
; IeeeMode: 1
; LDSByteSize: 0 bytes/workgroup (compile time only)
; SGPRBlocks: 1
; VGPRBlocks: 1
; NumSGPRsForWavesPerEU: 14
; NumVGPRsForWavesPerEU: 10
; AccumOffset: 12
; Occupancy: 8
; WaveLimiterHint : 0
; COMPUTE_PGM_RSRC2:SCRATCH_EN: 0
; COMPUTE_PGM_RSRC2:USER_SGPR: 6
; COMPUTE_PGM_RSRC2:TRAP_HANDLER: 0
; COMPUTE_PGM_RSRC2:TGID_X_EN: 1
; COMPUTE_PGM_RSRC2:TGID_Y_EN: 0
; COMPUTE_PGM_RSRC2:TGID_Z_EN: 0
; COMPUTE_PGM_RSRC2:TIDIG_COMP_CNT: 0
; COMPUTE_PGM_RSRC3_GFX90A:ACCUM_OFFSET: 2
; COMPUTE_PGM_RSRC3_GFX90A:TG_SPLIT: 0
	.section	.text._Z33tail_segmented_warp_reduce_kernelI6__halfhLj64ELj2EENSt9enable_ifIXsr10test_utilsE35device_test_enabled_for_warp_size_vIXT2_EEEvE4typeEPT_PT0_S5_,"axG",@progbits,_Z33tail_segmented_warp_reduce_kernelI6__halfhLj64ELj2EENSt9enable_ifIXsr10test_utilsE35device_test_enabled_for_warp_size_vIXT2_EEEvE4typeEPT_PT0_S5_,comdat
	.protected	_Z33tail_segmented_warp_reduce_kernelI6__halfhLj64ELj2EENSt9enable_ifIXsr10test_utilsE35device_test_enabled_for_warp_size_vIXT2_EEEvE4typeEPT_PT0_S5_ ; -- Begin function _Z33tail_segmented_warp_reduce_kernelI6__halfhLj64ELj2EENSt9enable_ifIXsr10test_utilsE35device_test_enabled_for_warp_size_vIXT2_EEEvE4typeEPT_PT0_S5_
	.globl	_Z33tail_segmented_warp_reduce_kernelI6__halfhLj64ELj2EENSt9enable_ifIXsr10test_utilsE35device_test_enabled_for_warp_size_vIXT2_EEEvE4typeEPT_PT0_S5_
	.p2align	8
	.type	_Z33tail_segmented_warp_reduce_kernelI6__halfhLj64ELj2EENSt9enable_ifIXsr10test_utilsE35device_test_enabled_for_warp_size_vIXT2_EEEvE4typeEPT_PT0_S5_,@function
_Z33tail_segmented_warp_reduce_kernelI6__halfhLj64ELj2EENSt9enable_ifIXsr10test_utilsE35device_test_enabled_for_warp_size_vIXT2_EEEvE4typeEPT_PT0_S5_: ; @_Z33tail_segmented_warp_reduce_kernelI6__halfhLj64ELj2EENSt9enable_ifIXsr10test_utilsE35device_test_enabled_for_warp_size_vIXT2_EEEvE4typeEPT_PT0_S5_
; %bb.0:
	s_load_dword s7, s[4:5], 0x24
	s_load_dwordx4 s[0:3], s[4:5], 0x0
	s_load_dwordx2 s[8:9], s[4:5], 0x10
	v_mov_b32_e32 v1, 0
	s_waitcnt lgkmcnt(0)
	s_and_b32 s4, s7, 0xffff
	s_mul_i32 s6, s6, s4
	v_add_u32_e32 v0, s6, v0
	v_lshlrev_b64 v[2:3], 1, v[0:1]
	v_mov_b32_e32 v1, s1
	global_load_ubyte v4, v0, s[2:3]
	v_add_co_u32_e32 v0, vcc, s0, v2
	v_addc_co_u32_e32 v1, vcc, v1, v3, vcc
	global_load_ushort v5, v[0:1], off
	v_mbcnt_lo_u32_b32 v0, -1, 0
	v_mbcnt_hi_u32_b32 v6, -1, v0
	v_lshlrev_b64 v[0:1], v6, -1
	v_and_b32_e32 v7, 0x7e, v6
	v_and_b32_e32 v8, 1, v6
	v_lshl_or_b32 v6, v6, 2, 4
	v_mov_b32_e32 v9, s9
	s_waitcnt vmcnt(1)
	v_cmp_ne_u16_e32 vcc, 0, v4
	v_and_b32_e32 v1, vcc_hi, v1
	v_and_b32_e32 v0, vcc_lo, v0
	v_lshrrev_b64 v[0:1], v7, v[0:1]
	v_or_b32_e32 v0, 2, v0
	s_waitcnt vmcnt(0)
	v_and_b32_e32 v4, 0xffff, v5
	ds_bpermute_b32 v4, v6, v4
	v_ffbl_b32_e32 v1, v1
	v_add_u32_e32 v1, 32, v1
	v_ffbl_b32_e32 v0, v0
	v_min_u32_e32 v0, v0, v1
	s_waitcnt lgkmcnt(0)
	v_add_f16_e32 v1, v5, v4
	v_cmp_lt_u32_e32 vcc, v8, v0
	v_cndmask_b32_e32 v4, v5, v1, vcc
	v_add_co_u32_e32 v0, vcc, s8, v2
	v_addc_co_u32_e32 v1, vcc, v9, v3, vcc
	global_store_short v[0:1], v4, off
	s_endpgm
	.section	.rodata,"a",@progbits
	.p2align	6, 0x0
	.amdhsa_kernel _Z33tail_segmented_warp_reduce_kernelI6__halfhLj64ELj2EENSt9enable_ifIXsr10test_utilsE35device_test_enabled_for_warp_size_vIXT2_EEEvE4typeEPT_PT0_S5_
		.amdhsa_group_segment_fixed_size 0
		.amdhsa_private_segment_fixed_size 0
		.amdhsa_kernarg_size 280
		.amdhsa_user_sgpr_count 6
		.amdhsa_user_sgpr_private_segment_buffer 1
		.amdhsa_user_sgpr_dispatch_ptr 0
		.amdhsa_user_sgpr_queue_ptr 0
		.amdhsa_user_sgpr_kernarg_segment_ptr 1
		.amdhsa_user_sgpr_dispatch_id 0
		.amdhsa_user_sgpr_flat_scratch_init 0
		.amdhsa_user_sgpr_kernarg_preload_length 0
		.amdhsa_user_sgpr_kernarg_preload_offset 0
		.amdhsa_user_sgpr_private_segment_size 0
		.amdhsa_uses_dynamic_stack 0
		.amdhsa_system_sgpr_private_segment_wavefront_offset 0
		.amdhsa_system_sgpr_workgroup_id_x 1
		.amdhsa_system_sgpr_workgroup_id_y 0
		.amdhsa_system_sgpr_workgroup_id_z 0
		.amdhsa_system_sgpr_workgroup_info 0
		.amdhsa_system_vgpr_workitem_id 0
		.amdhsa_next_free_vgpr 10
		.amdhsa_next_free_sgpr 10
		.amdhsa_accum_offset 12
		.amdhsa_reserve_vcc 1
		.amdhsa_reserve_flat_scratch 0
		.amdhsa_float_round_mode_32 0
		.amdhsa_float_round_mode_16_64 0
		.amdhsa_float_denorm_mode_32 3
		.amdhsa_float_denorm_mode_16_64 3
		.amdhsa_dx10_clamp 1
		.amdhsa_ieee_mode 1
		.amdhsa_fp16_overflow 0
		.amdhsa_tg_split 0
		.amdhsa_exception_fp_ieee_invalid_op 0
		.amdhsa_exception_fp_denorm_src 0
		.amdhsa_exception_fp_ieee_div_zero 0
		.amdhsa_exception_fp_ieee_overflow 0
		.amdhsa_exception_fp_ieee_underflow 0
		.amdhsa_exception_fp_ieee_inexact 0
		.amdhsa_exception_int_div_zero 0
	.end_amdhsa_kernel
	.section	.text._Z33tail_segmented_warp_reduce_kernelI6__halfhLj64ELj2EENSt9enable_ifIXsr10test_utilsE35device_test_enabled_for_warp_size_vIXT2_EEEvE4typeEPT_PT0_S5_,"axG",@progbits,_Z33tail_segmented_warp_reduce_kernelI6__halfhLj64ELj2EENSt9enable_ifIXsr10test_utilsE35device_test_enabled_for_warp_size_vIXT2_EEEvE4typeEPT_PT0_S5_,comdat
.Lfunc_end231:
	.size	_Z33tail_segmented_warp_reduce_kernelI6__halfhLj64ELj2EENSt9enable_ifIXsr10test_utilsE35device_test_enabled_for_warp_size_vIXT2_EEEvE4typeEPT_PT0_S5_, .Lfunc_end231-_Z33tail_segmented_warp_reduce_kernelI6__halfhLj64ELj2EENSt9enable_ifIXsr10test_utilsE35device_test_enabled_for_warp_size_vIXT2_EEEvE4typeEPT_PT0_S5_
                                        ; -- End function
	.section	.AMDGPU.csdata,"",@progbits
; Kernel info:
; codeLenInByte = 232
; NumSgprs: 14
; NumVgprs: 10
; NumAgprs: 0
; TotalNumVgprs: 10
; ScratchSize: 0
; MemoryBound: 0
; FloatMode: 240
; IeeeMode: 1
; LDSByteSize: 0 bytes/workgroup (compile time only)
; SGPRBlocks: 1
; VGPRBlocks: 1
; NumSGPRsForWavesPerEU: 14
; NumVGPRsForWavesPerEU: 10
; AccumOffset: 12
; Occupancy: 8
; WaveLimiterHint : 0
; COMPUTE_PGM_RSRC2:SCRATCH_EN: 0
; COMPUTE_PGM_RSRC2:USER_SGPR: 6
; COMPUTE_PGM_RSRC2:TRAP_HANDLER: 0
; COMPUTE_PGM_RSRC2:TGID_X_EN: 1
; COMPUTE_PGM_RSRC2:TGID_Y_EN: 0
; COMPUTE_PGM_RSRC2:TGID_Z_EN: 0
; COMPUTE_PGM_RSRC2:TIDIG_COMP_CNT: 0
; COMPUTE_PGM_RSRC3_GFX90A:ACCUM_OFFSET: 2
; COMPUTE_PGM_RSRC3_GFX90A:TG_SPLIT: 0
	.section	.text._Z33tail_segmented_warp_reduce_kernelI6__halfhLj32ELj1EENSt9enable_ifIXsr10test_utilsE35device_test_enabled_for_warp_size_vIXT2_EEEvE4typeEPT_PT0_S5_,"axG",@progbits,_Z33tail_segmented_warp_reduce_kernelI6__halfhLj32ELj1EENSt9enable_ifIXsr10test_utilsE35device_test_enabled_for_warp_size_vIXT2_EEEvE4typeEPT_PT0_S5_,comdat
	.protected	_Z33tail_segmented_warp_reduce_kernelI6__halfhLj32ELj1EENSt9enable_ifIXsr10test_utilsE35device_test_enabled_for_warp_size_vIXT2_EEEvE4typeEPT_PT0_S5_ ; -- Begin function _Z33tail_segmented_warp_reduce_kernelI6__halfhLj32ELj1EENSt9enable_ifIXsr10test_utilsE35device_test_enabled_for_warp_size_vIXT2_EEEvE4typeEPT_PT0_S5_
	.globl	_Z33tail_segmented_warp_reduce_kernelI6__halfhLj32ELj1EENSt9enable_ifIXsr10test_utilsE35device_test_enabled_for_warp_size_vIXT2_EEEvE4typeEPT_PT0_S5_
	.p2align	8
	.type	_Z33tail_segmented_warp_reduce_kernelI6__halfhLj32ELj1EENSt9enable_ifIXsr10test_utilsE35device_test_enabled_for_warp_size_vIXT2_EEEvE4typeEPT_PT0_S5_,@function
_Z33tail_segmented_warp_reduce_kernelI6__halfhLj32ELj1EENSt9enable_ifIXsr10test_utilsE35device_test_enabled_for_warp_size_vIXT2_EEEvE4typeEPT_PT0_S5_: ; @_Z33tail_segmented_warp_reduce_kernelI6__halfhLj32ELj1EENSt9enable_ifIXsr10test_utilsE35device_test_enabled_for_warp_size_vIXT2_EEEvE4typeEPT_PT0_S5_
; %bb.0:
	s_load_dword s7, s[4:5], 0x24
	s_load_dwordx2 s[0:1], s[4:5], 0x0
	s_load_dwordx2 s[2:3], s[4:5], 0x10
	v_mov_b32_e32 v1, 0
	s_waitcnt lgkmcnt(0)
	s_and_b32 s4, s7, 0xffff
	s_mul_i32 s6, s6, s4
	v_add_u32_e32 v0, s6, v0
	v_lshlrev_b64 v[0:1], 1, v[0:1]
	v_mov_b32_e32 v3, s1
	v_add_co_u32_e32 v2, vcc, s0, v0
	v_addc_co_u32_e32 v3, vcc, v3, v1, vcc
	global_load_ushort v2, v[2:3], off
	v_mov_b32_e32 v3, s3
	v_add_co_u32_e32 v0, vcc, s2, v0
	v_addc_co_u32_e32 v1, vcc, v3, v1, vcc
	s_waitcnt vmcnt(0)
	global_store_short v[0:1], v2, off
	s_endpgm
	.section	.rodata,"a",@progbits
	.p2align	6, 0x0
	.amdhsa_kernel _Z33tail_segmented_warp_reduce_kernelI6__halfhLj32ELj1EENSt9enable_ifIXsr10test_utilsE35device_test_enabled_for_warp_size_vIXT2_EEEvE4typeEPT_PT0_S5_
		.amdhsa_group_segment_fixed_size 0
		.amdhsa_private_segment_fixed_size 0
		.amdhsa_kernarg_size 280
		.amdhsa_user_sgpr_count 6
		.amdhsa_user_sgpr_private_segment_buffer 1
		.amdhsa_user_sgpr_dispatch_ptr 0
		.amdhsa_user_sgpr_queue_ptr 0
		.amdhsa_user_sgpr_kernarg_segment_ptr 1
		.amdhsa_user_sgpr_dispatch_id 0
		.amdhsa_user_sgpr_flat_scratch_init 0
		.amdhsa_user_sgpr_kernarg_preload_length 0
		.amdhsa_user_sgpr_kernarg_preload_offset 0
		.amdhsa_user_sgpr_private_segment_size 0
		.amdhsa_uses_dynamic_stack 0
		.amdhsa_system_sgpr_private_segment_wavefront_offset 0
		.amdhsa_system_sgpr_workgroup_id_x 1
		.amdhsa_system_sgpr_workgroup_id_y 0
		.amdhsa_system_sgpr_workgroup_id_z 0
		.amdhsa_system_sgpr_workgroup_info 0
		.amdhsa_system_vgpr_workitem_id 0
		.amdhsa_next_free_vgpr 4
		.amdhsa_next_free_sgpr 8
		.amdhsa_accum_offset 4
		.amdhsa_reserve_vcc 1
		.amdhsa_reserve_flat_scratch 0
		.amdhsa_float_round_mode_32 0
		.amdhsa_float_round_mode_16_64 0
		.amdhsa_float_denorm_mode_32 3
		.amdhsa_float_denorm_mode_16_64 3
		.amdhsa_dx10_clamp 1
		.amdhsa_ieee_mode 1
		.amdhsa_fp16_overflow 0
		.amdhsa_tg_split 0
		.amdhsa_exception_fp_ieee_invalid_op 0
		.amdhsa_exception_fp_denorm_src 0
		.amdhsa_exception_fp_ieee_div_zero 0
		.amdhsa_exception_fp_ieee_overflow 0
		.amdhsa_exception_fp_ieee_underflow 0
		.amdhsa_exception_fp_ieee_inexact 0
		.amdhsa_exception_int_div_zero 0
	.end_amdhsa_kernel
	.section	.text._Z33tail_segmented_warp_reduce_kernelI6__halfhLj32ELj1EENSt9enable_ifIXsr10test_utilsE35device_test_enabled_for_warp_size_vIXT2_EEEvE4typeEPT_PT0_S5_,"axG",@progbits,_Z33tail_segmented_warp_reduce_kernelI6__halfhLj32ELj1EENSt9enable_ifIXsr10test_utilsE35device_test_enabled_for_warp_size_vIXT2_EEEvE4typeEPT_PT0_S5_,comdat
.Lfunc_end232:
	.size	_Z33tail_segmented_warp_reduce_kernelI6__halfhLj32ELj1EENSt9enable_ifIXsr10test_utilsE35device_test_enabled_for_warp_size_vIXT2_EEEvE4typeEPT_PT0_S5_, .Lfunc_end232-_Z33tail_segmented_warp_reduce_kernelI6__halfhLj32ELj1EENSt9enable_ifIXsr10test_utilsE35device_test_enabled_for_warp_size_vIXT2_EEEvE4typeEPT_PT0_S5_
                                        ; -- End function
	.section	.AMDGPU.csdata,"",@progbits
; Kernel info:
; codeLenInByte = 104
; NumSgprs: 12
; NumVgprs: 4
; NumAgprs: 0
; TotalNumVgprs: 4
; ScratchSize: 0
; MemoryBound: 0
; FloatMode: 240
; IeeeMode: 1
; LDSByteSize: 0 bytes/workgroup (compile time only)
; SGPRBlocks: 1
; VGPRBlocks: 0
; NumSGPRsForWavesPerEU: 12
; NumVGPRsForWavesPerEU: 4
; AccumOffset: 4
; Occupancy: 8
; WaveLimiterHint : 0
; COMPUTE_PGM_RSRC2:SCRATCH_EN: 0
; COMPUTE_PGM_RSRC2:USER_SGPR: 6
; COMPUTE_PGM_RSRC2:TRAP_HANDLER: 0
; COMPUTE_PGM_RSRC2:TGID_X_EN: 1
; COMPUTE_PGM_RSRC2:TGID_Y_EN: 0
; COMPUTE_PGM_RSRC2:TGID_Z_EN: 0
; COMPUTE_PGM_RSRC2:TIDIG_COMP_CNT: 0
; COMPUTE_PGM_RSRC3_GFX90A:ACCUM_OFFSET: 0
; COMPUTE_PGM_RSRC3_GFX90A:TG_SPLIT: 0
	.section	.text._Z33tail_segmented_warp_reduce_kernelI6__halfhLj64ELj1EENSt9enable_ifIXsr10test_utilsE35device_test_enabled_for_warp_size_vIXT2_EEEvE4typeEPT_PT0_S5_,"axG",@progbits,_Z33tail_segmented_warp_reduce_kernelI6__halfhLj64ELj1EENSt9enable_ifIXsr10test_utilsE35device_test_enabled_for_warp_size_vIXT2_EEEvE4typeEPT_PT0_S5_,comdat
	.protected	_Z33tail_segmented_warp_reduce_kernelI6__halfhLj64ELj1EENSt9enable_ifIXsr10test_utilsE35device_test_enabled_for_warp_size_vIXT2_EEEvE4typeEPT_PT0_S5_ ; -- Begin function _Z33tail_segmented_warp_reduce_kernelI6__halfhLj64ELj1EENSt9enable_ifIXsr10test_utilsE35device_test_enabled_for_warp_size_vIXT2_EEEvE4typeEPT_PT0_S5_
	.globl	_Z33tail_segmented_warp_reduce_kernelI6__halfhLj64ELj1EENSt9enable_ifIXsr10test_utilsE35device_test_enabled_for_warp_size_vIXT2_EEEvE4typeEPT_PT0_S5_
	.p2align	8
	.type	_Z33tail_segmented_warp_reduce_kernelI6__halfhLj64ELj1EENSt9enable_ifIXsr10test_utilsE35device_test_enabled_for_warp_size_vIXT2_EEEvE4typeEPT_PT0_S5_,@function
_Z33tail_segmented_warp_reduce_kernelI6__halfhLj64ELj1EENSt9enable_ifIXsr10test_utilsE35device_test_enabled_for_warp_size_vIXT2_EEEvE4typeEPT_PT0_S5_: ; @_Z33tail_segmented_warp_reduce_kernelI6__halfhLj64ELj1EENSt9enable_ifIXsr10test_utilsE35device_test_enabled_for_warp_size_vIXT2_EEEvE4typeEPT_PT0_S5_
; %bb.0:
	s_load_dword s7, s[4:5], 0x24
	s_load_dwordx2 s[0:1], s[4:5], 0x0
	s_load_dwordx2 s[2:3], s[4:5], 0x10
	v_mov_b32_e32 v1, 0
	s_waitcnt lgkmcnt(0)
	s_and_b32 s4, s7, 0xffff
	s_mul_i32 s6, s6, s4
	v_add_u32_e32 v0, s6, v0
	v_lshlrev_b64 v[0:1], 1, v[0:1]
	v_mov_b32_e32 v3, s1
	v_add_co_u32_e32 v2, vcc, s0, v0
	v_addc_co_u32_e32 v3, vcc, v3, v1, vcc
	global_load_ushort v2, v[2:3], off
	v_mov_b32_e32 v3, s3
	v_add_co_u32_e32 v0, vcc, s2, v0
	v_addc_co_u32_e32 v1, vcc, v3, v1, vcc
	s_waitcnt vmcnt(0)
	global_store_short v[0:1], v2, off
	s_endpgm
	.section	.rodata,"a",@progbits
	.p2align	6, 0x0
	.amdhsa_kernel _Z33tail_segmented_warp_reduce_kernelI6__halfhLj64ELj1EENSt9enable_ifIXsr10test_utilsE35device_test_enabled_for_warp_size_vIXT2_EEEvE4typeEPT_PT0_S5_
		.amdhsa_group_segment_fixed_size 0
		.amdhsa_private_segment_fixed_size 0
		.amdhsa_kernarg_size 280
		.amdhsa_user_sgpr_count 6
		.amdhsa_user_sgpr_private_segment_buffer 1
		.amdhsa_user_sgpr_dispatch_ptr 0
		.amdhsa_user_sgpr_queue_ptr 0
		.amdhsa_user_sgpr_kernarg_segment_ptr 1
		.amdhsa_user_sgpr_dispatch_id 0
		.amdhsa_user_sgpr_flat_scratch_init 0
		.amdhsa_user_sgpr_kernarg_preload_length 0
		.amdhsa_user_sgpr_kernarg_preload_offset 0
		.amdhsa_user_sgpr_private_segment_size 0
		.amdhsa_uses_dynamic_stack 0
		.amdhsa_system_sgpr_private_segment_wavefront_offset 0
		.amdhsa_system_sgpr_workgroup_id_x 1
		.amdhsa_system_sgpr_workgroup_id_y 0
		.amdhsa_system_sgpr_workgroup_id_z 0
		.amdhsa_system_sgpr_workgroup_info 0
		.amdhsa_system_vgpr_workitem_id 0
		.amdhsa_next_free_vgpr 4
		.amdhsa_next_free_sgpr 8
		.amdhsa_accum_offset 4
		.amdhsa_reserve_vcc 1
		.amdhsa_reserve_flat_scratch 0
		.amdhsa_float_round_mode_32 0
		.amdhsa_float_round_mode_16_64 0
		.amdhsa_float_denorm_mode_32 3
		.amdhsa_float_denorm_mode_16_64 3
		.amdhsa_dx10_clamp 1
		.amdhsa_ieee_mode 1
		.amdhsa_fp16_overflow 0
		.amdhsa_tg_split 0
		.amdhsa_exception_fp_ieee_invalid_op 0
		.amdhsa_exception_fp_denorm_src 0
		.amdhsa_exception_fp_ieee_div_zero 0
		.amdhsa_exception_fp_ieee_overflow 0
		.amdhsa_exception_fp_ieee_underflow 0
		.amdhsa_exception_fp_ieee_inexact 0
		.amdhsa_exception_int_div_zero 0
	.end_amdhsa_kernel
	.section	.text._Z33tail_segmented_warp_reduce_kernelI6__halfhLj64ELj1EENSt9enable_ifIXsr10test_utilsE35device_test_enabled_for_warp_size_vIXT2_EEEvE4typeEPT_PT0_S5_,"axG",@progbits,_Z33tail_segmented_warp_reduce_kernelI6__halfhLj64ELj1EENSt9enable_ifIXsr10test_utilsE35device_test_enabled_for_warp_size_vIXT2_EEEvE4typeEPT_PT0_S5_,comdat
.Lfunc_end233:
	.size	_Z33tail_segmented_warp_reduce_kernelI6__halfhLj64ELj1EENSt9enable_ifIXsr10test_utilsE35device_test_enabled_for_warp_size_vIXT2_EEEvE4typeEPT_PT0_S5_, .Lfunc_end233-_Z33tail_segmented_warp_reduce_kernelI6__halfhLj64ELj1EENSt9enable_ifIXsr10test_utilsE35device_test_enabled_for_warp_size_vIXT2_EEEvE4typeEPT_PT0_S5_
                                        ; -- End function
	.section	.AMDGPU.csdata,"",@progbits
; Kernel info:
; codeLenInByte = 104
; NumSgprs: 12
; NumVgprs: 4
; NumAgprs: 0
; TotalNumVgprs: 4
; ScratchSize: 0
; MemoryBound: 0
; FloatMode: 240
; IeeeMode: 1
; LDSByteSize: 0 bytes/workgroup (compile time only)
; SGPRBlocks: 1
; VGPRBlocks: 0
; NumSGPRsForWavesPerEU: 12
; NumVGPRsForWavesPerEU: 4
; AccumOffset: 4
; Occupancy: 8
; WaveLimiterHint : 0
; COMPUTE_PGM_RSRC2:SCRATCH_EN: 0
; COMPUTE_PGM_RSRC2:USER_SGPR: 6
; COMPUTE_PGM_RSRC2:TRAP_HANDLER: 0
; COMPUTE_PGM_RSRC2:TGID_X_EN: 1
; COMPUTE_PGM_RSRC2:TGID_Y_EN: 0
; COMPUTE_PGM_RSRC2:TGID_Z_EN: 0
; COMPUTE_PGM_RSRC2:TIDIG_COMP_CNT: 0
; COMPUTE_PGM_RSRC3_GFX90A:ACCUM_OFFSET: 0
; COMPUTE_PGM_RSRC3_GFX90A:TG_SPLIT: 0
	.section	.text._Z33tail_segmented_warp_reduce_kernelIfhLj256ELj64EENSt9enable_ifIXsr10test_utilsE35device_test_enabled_for_warp_size_vIXT2_EEEvE4typeEPT_PT0_S4_,"axG",@progbits,_Z33tail_segmented_warp_reduce_kernelIfhLj256ELj64EENSt9enable_ifIXsr10test_utilsE35device_test_enabled_for_warp_size_vIXT2_EEEvE4typeEPT_PT0_S4_,comdat
	.protected	_Z33tail_segmented_warp_reduce_kernelIfhLj256ELj64EENSt9enable_ifIXsr10test_utilsE35device_test_enabled_for_warp_size_vIXT2_EEEvE4typeEPT_PT0_S4_ ; -- Begin function _Z33tail_segmented_warp_reduce_kernelIfhLj256ELj64EENSt9enable_ifIXsr10test_utilsE35device_test_enabled_for_warp_size_vIXT2_EEEvE4typeEPT_PT0_S4_
	.globl	_Z33tail_segmented_warp_reduce_kernelIfhLj256ELj64EENSt9enable_ifIXsr10test_utilsE35device_test_enabled_for_warp_size_vIXT2_EEEvE4typeEPT_PT0_S4_
	.p2align	8
	.type	_Z33tail_segmented_warp_reduce_kernelIfhLj256ELj64EENSt9enable_ifIXsr10test_utilsE35device_test_enabled_for_warp_size_vIXT2_EEEvE4typeEPT_PT0_S4_,@function
_Z33tail_segmented_warp_reduce_kernelIfhLj256ELj64EENSt9enable_ifIXsr10test_utilsE35device_test_enabled_for_warp_size_vIXT2_EEEvE4typeEPT_PT0_S4_: ; @_Z33tail_segmented_warp_reduce_kernelIfhLj256ELj64EENSt9enable_ifIXsr10test_utilsE35device_test_enabled_for_warp_size_vIXT2_EEEvE4typeEPT_PT0_S4_
; %bb.0:
	s_load_dword s2, s[4:5], 0x24
	s_load_dwordx4 s[8:11], s[4:5], 0x0
	s_load_dwordx2 s[0:1], s[4:5], 0x10
	v_mov_b32_e32 v1, 0
	s_waitcnt lgkmcnt(0)
	s_and_b32 s2, s2, 0xffff
	s_mul_i32 s6, s6, s2
	v_add_u32_e32 v0, s6, v0
	v_lshlrev_b64 v[2:3], 2, v[0:1]
	v_mov_b32_e32 v1, s9
	global_load_ubyte v4, v0, s[10:11]
	v_add_co_u32_e32 v0, vcc, s8, v2
	v_addc_co_u32_e32 v1, vcc, v1, v3, vcc
	global_load_dword v5, v[0:1], off
	v_mbcnt_lo_u32_b32 v0, -1, 0
	v_mbcnt_hi_u32_b32 v6, -1, v0
	v_and_b32_e32 v7, 63, v6
	v_cmp_ne_u32_e32 vcc, 63, v7
	v_addc_co_u32_e32 v13, vcc, 0, v6, vcc
	v_cmp_gt_u32_e32 vcc, 62, v7
	v_lshlrev_b64 v[0:1], v6, -1
	v_cndmask_b32_e64 v14, 0, 1, vcc
	v_lshlrev_b32_e32 v13, 2, v13
	v_add_u32_e32 v8, 1, v6
	v_lshlrev_b32_e32 v14, 1, v14
	v_add_lshl_u32 v14, v14, v6, 2
	v_add_u32_e32 v9, 2, v6
	v_add_u32_e32 v10, 4, v6
	;; [unrolled: 1-line block ×4, first 2 shown]
	s_waitcnt vmcnt(1)
	v_cmp_ne_u16_e32 vcc, 0, v4
	v_and_b32_e32 v1, vcc_hi, v1
	v_or_b32_e32 v1, 0x80000000, v1
	v_and_b32_e32 v0, vcc_lo, v0
	v_ffbl_b32_e32 v1, v1
	s_waitcnt vmcnt(0)
	ds_bpermute_b32 v4, v13, v5
	v_ffbl_b32_e32 v0, v0
	v_add_u32_e32 v1, 32, v1
	v_min_u32_e32 v0, v0, v1
	v_cmp_gt_u32_e32 vcc, v8, v0
	s_waitcnt lgkmcnt(0)
	v_add_f32_e32 v1, v5, v4
	v_cndmask_b32_e32 v1, v1, v5, vcc
	ds_bpermute_b32 v4, v14, v1
	v_cmp_gt_u32_e32 vcc, 60, v7
	v_cndmask_b32_e64 v5, 0, 1, vcc
	v_lshlrev_b32_e32 v5, 2, v5
	v_cmp_gt_u32_e32 vcc, v9, v0
	s_waitcnt lgkmcnt(0)
	v_add_f32_e32 v4, v1, v4
	v_add_lshl_u32 v5, v5, v6, 2
	v_cndmask_b32_e32 v1, v4, v1, vcc
	ds_bpermute_b32 v4, v5, v1
	v_cmp_gt_u32_e32 vcc, 56, v7
	v_cndmask_b32_e64 v5, 0, 1, vcc
	v_lshlrev_b32_e32 v5, 3, v5
	v_cmp_gt_u32_e32 vcc, v10, v0
	s_waitcnt lgkmcnt(0)
	v_add_f32_e32 v4, v1, v4
	v_add_lshl_u32 v5, v5, v6, 2
	v_cndmask_b32_e32 v1, v4, v1, vcc
	ds_bpermute_b32 v4, v5, v1
	v_cmp_gt_u32_e32 vcc, 48, v7
	v_cndmask_b32_e64 v5, 0, 1, vcc
	v_lshlrev_b32_e32 v5, 4, v5
	v_cmp_gt_u32_e32 vcc, v11, v0
	s_waitcnt lgkmcnt(0)
	v_add_f32_e32 v4, v1, v4
	v_add_lshl_u32 v5, v5, v6, 2
	v_cndmask_b32_e32 v1, v4, v1, vcc
	ds_bpermute_b32 v4, v5, v1
	v_cmp_gt_u32_e32 vcc, 32, v7
	v_cndmask_b32_e64 v5, 0, 1, vcc
	v_lshlrev_b32_e32 v5, 5, v5
	v_cmp_gt_u32_e32 vcc, v12, v0
	s_waitcnt lgkmcnt(0)
	v_add_f32_e32 v4, v1, v4
	v_add_lshl_u32 v5, v5, v6, 2
	v_cndmask_b32_e32 v1, v4, v1, vcc
	ds_bpermute_b32 v4, v5, v1
	v_add_u32_e32 v5, 32, v6
	v_cmp_gt_u32_e32 vcc, v5, v0
	v_mov_b32_e32 v6, s1
	s_waitcnt lgkmcnt(0)
	v_add_f32_e32 v4, v1, v4
	v_cndmask_b32_e32 v4, v4, v1, vcc
	v_add_co_u32_e32 v0, vcc, s0, v2
	v_addc_co_u32_e32 v1, vcc, v6, v3, vcc
	global_store_dword v[0:1], v4, off
	s_endpgm
	.section	.rodata,"a",@progbits
	.p2align	6, 0x0
	.amdhsa_kernel _Z33tail_segmented_warp_reduce_kernelIfhLj256ELj64EENSt9enable_ifIXsr10test_utilsE35device_test_enabled_for_warp_size_vIXT2_EEEvE4typeEPT_PT0_S4_
		.amdhsa_group_segment_fixed_size 0
		.amdhsa_private_segment_fixed_size 0
		.amdhsa_kernarg_size 280
		.amdhsa_user_sgpr_count 6
		.amdhsa_user_sgpr_private_segment_buffer 1
		.amdhsa_user_sgpr_dispatch_ptr 0
		.amdhsa_user_sgpr_queue_ptr 0
		.amdhsa_user_sgpr_kernarg_segment_ptr 1
		.amdhsa_user_sgpr_dispatch_id 0
		.amdhsa_user_sgpr_flat_scratch_init 0
		.amdhsa_user_sgpr_kernarg_preload_length 0
		.amdhsa_user_sgpr_kernarg_preload_offset 0
		.amdhsa_user_sgpr_private_segment_size 0
		.amdhsa_uses_dynamic_stack 0
		.amdhsa_system_sgpr_private_segment_wavefront_offset 0
		.amdhsa_system_sgpr_workgroup_id_x 1
		.amdhsa_system_sgpr_workgroup_id_y 0
		.amdhsa_system_sgpr_workgroup_id_z 0
		.amdhsa_system_sgpr_workgroup_info 0
		.amdhsa_system_vgpr_workitem_id 0
		.amdhsa_next_free_vgpr 15
		.amdhsa_next_free_sgpr 12
		.amdhsa_accum_offset 16
		.amdhsa_reserve_vcc 1
		.amdhsa_reserve_flat_scratch 0
		.amdhsa_float_round_mode_32 0
		.amdhsa_float_round_mode_16_64 0
		.amdhsa_float_denorm_mode_32 3
		.amdhsa_float_denorm_mode_16_64 3
		.amdhsa_dx10_clamp 1
		.amdhsa_ieee_mode 1
		.amdhsa_fp16_overflow 0
		.amdhsa_tg_split 0
		.amdhsa_exception_fp_ieee_invalid_op 0
		.amdhsa_exception_fp_denorm_src 0
		.amdhsa_exception_fp_ieee_div_zero 0
		.amdhsa_exception_fp_ieee_overflow 0
		.amdhsa_exception_fp_ieee_underflow 0
		.amdhsa_exception_fp_ieee_inexact 0
		.amdhsa_exception_int_div_zero 0
	.end_amdhsa_kernel
	.section	.text._Z33tail_segmented_warp_reduce_kernelIfhLj256ELj64EENSt9enable_ifIXsr10test_utilsE35device_test_enabled_for_warp_size_vIXT2_EEEvE4typeEPT_PT0_S4_,"axG",@progbits,_Z33tail_segmented_warp_reduce_kernelIfhLj256ELj64EENSt9enable_ifIXsr10test_utilsE35device_test_enabled_for_warp_size_vIXT2_EEEvE4typeEPT_PT0_S4_,comdat
.Lfunc_end234:
	.size	_Z33tail_segmented_warp_reduce_kernelIfhLj256ELj64EENSt9enable_ifIXsr10test_utilsE35device_test_enabled_for_warp_size_vIXT2_EEEvE4typeEPT_PT0_S4_, .Lfunc_end234-_Z33tail_segmented_warp_reduce_kernelIfhLj256ELj64EENSt9enable_ifIXsr10test_utilsE35device_test_enabled_for_warp_size_vIXT2_EEEvE4typeEPT_PT0_S4_
                                        ; -- End function
	.section	.AMDGPU.csdata,"",@progbits
; Kernel info:
; codeLenInByte = 480
; NumSgprs: 16
; NumVgprs: 15
; NumAgprs: 0
; TotalNumVgprs: 15
; ScratchSize: 0
; MemoryBound: 0
; FloatMode: 240
; IeeeMode: 1
; LDSByteSize: 0 bytes/workgroup (compile time only)
; SGPRBlocks: 1
; VGPRBlocks: 1
; NumSGPRsForWavesPerEU: 16
; NumVGPRsForWavesPerEU: 15
; AccumOffset: 16
; Occupancy: 8
; WaveLimiterHint : 0
; COMPUTE_PGM_RSRC2:SCRATCH_EN: 0
; COMPUTE_PGM_RSRC2:USER_SGPR: 6
; COMPUTE_PGM_RSRC2:TRAP_HANDLER: 0
; COMPUTE_PGM_RSRC2:TGID_X_EN: 1
; COMPUTE_PGM_RSRC2:TGID_Y_EN: 0
; COMPUTE_PGM_RSRC2:TGID_Z_EN: 0
; COMPUTE_PGM_RSRC2:TIDIG_COMP_CNT: 0
; COMPUTE_PGM_RSRC3_GFX90A:ACCUM_OFFSET: 3
; COMPUTE_PGM_RSRC3_GFX90A:TG_SPLIT: 0
	.section	.text._Z33tail_segmented_warp_reduce_kernelIfhLj128ELj32EENSt9enable_ifIXsr10test_utilsE35device_test_enabled_for_warp_size_vIXT2_EEEvE4typeEPT_PT0_S4_,"axG",@progbits,_Z33tail_segmented_warp_reduce_kernelIfhLj128ELj32EENSt9enable_ifIXsr10test_utilsE35device_test_enabled_for_warp_size_vIXT2_EEEvE4typeEPT_PT0_S4_,comdat
	.protected	_Z33tail_segmented_warp_reduce_kernelIfhLj128ELj32EENSt9enable_ifIXsr10test_utilsE35device_test_enabled_for_warp_size_vIXT2_EEEvE4typeEPT_PT0_S4_ ; -- Begin function _Z33tail_segmented_warp_reduce_kernelIfhLj128ELj32EENSt9enable_ifIXsr10test_utilsE35device_test_enabled_for_warp_size_vIXT2_EEEvE4typeEPT_PT0_S4_
	.globl	_Z33tail_segmented_warp_reduce_kernelIfhLj128ELj32EENSt9enable_ifIXsr10test_utilsE35device_test_enabled_for_warp_size_vIXT2_EEEvE4typeEPT_PT0_S4_
	.p2align	8
	.type	_Z33tail_segmented_warp_reduce_kernelIfhLj128ELj32EENSt9enable_ifIXsr10test_utilsE35device_test_enabled_for_warp_size_vIXT2_EEEvE4typeEPT_PT0_S4_,@function
_Z33tail_segmented_warp_reduce_kernelIfhLj128ELj32EENSt9enable_ifIXsr10test_utilsE35device_test_enabled_for_warp_size_vIXT2_EEEvE4typeEPT_PT0_S4_: ; @_Z33tail_segmented_warp_reduce_kernelIfhLj128ELj32EENSt9enable_ifIXsr10test_utilsE35device_test_enabled_for_warp_size_vIXT2_EEEvE4typeEPT_PT0_S4_
; %bb.0:
	s_load_dword s7, s[4:5], 0x24
	s_load_dwordx4 s[0:3], s[4:5], 0x0
	s_load_dwordx2 s[8:9], s[4:5], 0x10
	v_mov_b32_e32 v1, 0
	s_waitcnt lgkmcnt(0)
	s_and_b32 s4, s7, 0xffff
	s_mul_i32 s6, s6, s4
	v_add_u32_e32 v0, s6, v0
	v_lshlrev_b64 v[2:3], 2, v[0:1]
	v_mov_b32_e32 v1, s1
	global_load_ubyte v4, v0, s[2:3]
	v_add_co_u32_e32 v0, vcc, s0, v2
	v_addc_co_u32_e32 v1, vcc, v1, v3, vcc
	global_load_dword v5, v[0:1], off
	v_mbcnt_lo_u32_b32 v0, -1, 0
	v_mbcnt_hi_u32_b32 v6, -1, v0
	v_and_b32_e32 v8, 31, v6
	v_cmp_ne_u32_e32 vcc, 31, v8
	v_addc_co_u32_e32 v9, vcc, 0, v6, vcc
	v_cmp_gt_u32_e32 vcc, 30, v8
	v_lshlrev_b64 v[0:1], v6, -1
	v_cndmask_b32_e64 v11, 0, 1, vcc
	v_lshlrev_b32_e32 v9, 2, v9
	v_and_b32_e32 v7, 0x60, v6
	v_lshlrev_b32_e32 v11, 1, v11
	v_add_lshl_u32 v11, v11, v6, 2
	v_cmp_gt_u32_e64 s[0:1], 28, v8
	v_add_u32_e32 v10, 2, v8
	v_add_u32_e32 v12, 4, v8
	v_cmp_gt_u32_e64 s[2:3], 16, v8
	s_waitcnt vmcnt(1)
	v_cmp_ne_u16_e32 vcc, 0, v4
	v_and_b32_e32 v1, vcc_hi, v1
	v_and_b32_e32 v0, vcc_lo, v0
	v_lshrrev_b64 v[0:1], v7, v[0:1]
	v_or_b32_e32 v0, 0x80000000, v0
	s_waitcnt vmcnt(0)
	ds_bpermute_b32 v4, v9, v5
	v_ffbl_b32_e32 v1, v1
	v_add_u32_e32 v1, 32, v1
	v_ffbl_b32_e32 v0, v0
	v_min_u32_e32 v0, v0, v1
	s_waitcnt lgkmcnt(0)
	v_add_f32_e32 v1, v5, v4
	v_cmp_lt_u32_e32 vcc, v8, v0
	v_cndmask_b32_e32 v1, v5, v1, vcc
	ds_bpermute_b32 v4, v11, v1
	v_cndmask_b32_e64 v7, 0, 1, s[0:1]
	v_lshlrev_b32_e32 v7, 2, v7
	v_cmp_gt_u32_e64 s[0:1], v10, v0
	v_add_lshl_u32 v7, v7, v6, 2
	s_waitcnt lgkmcnt(0)
	v_add_f32_e32 v4, v1, v4
	v_cndmask_b32_e64 v1, v4, v1, s[0:1]
	ds_bpermute_b32 v4, v7, v1
	v_cmp_gt_u32_e64 s[0:1], 24, v8
	v_cndmask_b32_e64 v7, 0, 1, s[0:1]
	v_lshlrev_b32_e32 v7, 3, v7
	v_cmp_gt_u32_e64 s[0:1], v12, v0
	s_waitcnt lgkmcnt(0)
	v_add_f32_e32 v4, v1, v4
	v_add_lshl_u32 v7, v7, v6, 2
	v_cndmask_b32_e64 v11, v4, v1, s[0:1]
	ds_bpermute_b32 v7, v7, v11
	v_add_u32_e32 v9, 8, v8
	v_add_u32_e32 v10, 16, v8
	v_cndmask_b32_e64 v8, 0, 1, s[2:3]
	v_lshlrev_b32_e32 v8, 4, v8
	s_waitcnt lgkmcnt(0)
	v_add_f32_e32 v7, v11, v7
	v_cmp_gt_u32_e64 s[2:3], v9, v0
	v_add_lshl_u32 v6, v8, v6, 2
	v_cndmask_b32_e64 v8, v7, v11, s[2:3]
	ds_bpermute_b32 v6, v6, v8
	v_cndmask_b32_e32 v1, v5, v1, vcc
	v_cndmask_b32_e64 v1, v4, v1, s[0:1]
	v_cndmask_b32_e64 v1, v7, v1, s[2:3]
	v_cmp_gt_u32_e32 vcc, v10, v0
	s_waitcnt lgkmcnt(0)
	v_add_f32_e32 v4, v8, v6
	v_mov_b32_e32 v9, s9
	v_cndmask_b32_e32 v4, v4, v1, vcc
	v_add_co_u32_e32 v0, vcc, s8, v2
	v_addc_co_u32_e32 v1, vcc, v9, v3, vcc
	global_store_dword v[0:1], v4, off
	s_endpgm
	.section	.rodata,"a",@progbits
	.p2align	6, 0x0
	.amdhsa_kernel _Z33tail_segmented_warp_reduce_kernelIfhLj128ELj32EENSt9enable_ifIXsr10test_utilsE35device_test_enabled_for_warp_size_vIXT2_EEEvE4typeEPT_PT0_S4_
		.amdhsa_group_segment_fixed_size 0
		.amdhsa_private_segment_fixed_size 0
		.amdhsa_kernarg_size 280
		.amdhsa_user_sgpr_count 6
		.amdhsa_user_sgpr_private_segment_buffer 1
		.amdhsa_user_sgpr_dispatch_ptr 0
		.amdhsa_user_sgpr_queue_ptr 0
		.amdhsa_user_sgpr_kernarg_segment_ptr 1
		.amdhsa_user_sgpr_dispatch_id 0
		.amdhsa_user_sgpr_flat_scratch_init 0
		.amdhsa_user_sgpr_kernarg_preload_length 0
		.amdhsa_user_sgpr_kernarg_preload_offset 0
		.amdhsa_user_sgpr_private_segment_size 0
		.amdhsa_uses_dynamic_stack 0
		.amdhsa_system_sgpr_private_segment_wavefront_offset 0
		.amdhsa_system_sgpr_workgroup_id_x 1
		.amdhsa_system_sgpr_workgroup_id_y 0
		.amdhsa_system_sgpr_workgroup_id_z 0
		.amdhsa_system_sgpr_workgroup_info 0
		.amdhsa_system_vgpr_workitem_id 0
		.amdhsa_next_free_vgpr 13
		.amdhsa_next_free_sgpr 10
		.amdhsa_accum_offset 16
		.amdhsa_reserve_vcc 1
		.amdhsa_reserve_flat_scratch 0
		.amdhsa_float_round_mode_32 0
		.amdhsa_float_round_mode_16_64 0
		.amdhsa_float_denorm_mode_32 3
		.amdhsa_float_denorm_mode_16_64 3
		.amdhsa_dx10_clamp 1
		.amdhsa_ieee_mode 1
		.amdhsa_fp16_overflow 0
		.amdhsa_tg_split 0
		.amdhsa_exception_fp_ieee_invalid_op 0
		.amdhsa_exception_fp_denorm_src 0
		.amdhsa_exception_fp_ieee_div_zero 0
		.amdhsa_exception_fp_ieee_overflow 0
		.amdhsa_exception_fp_ieee_underflow 0
		.amdhsa_exception_fp_ieee_inexact 0
		.amdhsa_exception_int_div_zero 0
	.end_amdhsa_kernel
	.section	.text._Z33tail_segmented_warp_reduce_kernelIfhLj128ELj32EENSt9enable_ifIXsr10test_utilsE35device_test_enabled_for_warp_size_vIXT2_EEEvE4typeEPT_PT0_S4_,"axG",@progbits,_Z33tail_segmented_warp_reduce_kernelIfhLj128ELj32EENSt9enable_ifIXsr10test_utilsE35device_test_enabled_for_warp_size_vIXT2_EEEvE4typeEPT_PT0_S4_,comdat
.Lfunc_end235:
	.size	_Z33tail_segmented_warp_reduce_kernelIfhLj128ELj32EENSt9enable_ifIXsr10test_utilsE35device_test_enabled_for_warp_size_vIXT2_EEEvE4typeEPT_PT0_S4_, .Lfunc_end235-_Z33tail_segmented_warp_reduce_kernelIfhLj128ELj32EENSt9enable_ifIXsr10test_utilsE35device_test_enabled_for_warp_size_vIXT2_EEEvE4typeEPT_PT0_S4_
                                        ; -- End function
	.section	.AMDGPU.csdata,"",@progbits
; Kernel info:
; codeLenInByte = 496
; NumSgprs: 14
; NumVgprs: 13
; NumAgprs: 0
; TotalNumVgprs: 13
; ScratchSize: 0
; MemoryBound: 0
; FloatMode: 240
; IeeeMode: 1
; LDSByteSize: 0 bytes/workgroup (compile time only)
; SGPRBlocks: 1
; VGPRBlocks: 1
; NumSGPRsForWavesPerEU: 14
; NumVGPRsForWavesPerEU: 13
; AccumOffset: 16
; Occupancy: 8
; WaveLimiterHint : 0
; COMPUTE_PGM_RSRC2:SCRATCH_EN: 0
; COMPUTE_PGM_RSRC2:USER_SGPR: 6
; COMPUTE_PGM_RSRC2:TRAP_HANDLER: 0
; COMPUTE_PGM_RSRC2:TGID_X_EN: 1
; COMPUTE_PGM_RSRC2:TGID_Y_EN: 0
; COMPUTE_PGM_RSRC2:TGID_Z_EN: 0
; COMPUTE_PGM_RSRC2:TIDIG_COMP_CNT: 0
; COMPUTE_PGM_RSRC3_GFX90A:ACCUM_OFFSET: 3
; COMPUTE_PGM_RSRC3_GFX90A:TG_SPLIT: 0
	.section	.text._Z33tail_segmented_warp_reduce_kernelIfhLj64ELj16EENSt9enable_ifIXsr10test_utilsE35device_test_enabled_for_warp_size_vIXT2_EEEvE4typeEPT_PT0_S4_,"axG",@progbits,_Z33tail_segmented_warp_reduce_kernelIfhLj64ELj16EENSt9enable_ifIXsr10test_utilsE35device_test_enabled_for_warp_size_vIXT2_EEEvE4typeEPT_PT0_S4_,comdat
	.protected	_Z33tail_segmented_warp_reduce_kernelIfhLj64ELj16EENSt9enable_ifIXsr10test_utilsE35device_test_enabled_for_warp_size_vIXT2_EEEvE4typeEPT_PT0_S4_ ; -- Begin function _Z33tail_segmented_warp_reduce_kernelIfhLj64ELj16EENSt9enable_ifIXsr10test_utilsE35device_test_enabled_for_warp_size_vIXT2_EEEvE4typeEPT_PT0_S4_
	.globl	_Z33tail_segmented_warp_reduce_kernelIfhLj64ELj16EENSt9enable_ifIXsr10test_utilsE35device_test_enabled_for_warp_size_vIXT2_EEEvE4typeEPT_PT0_S4_
	.p2align	8
	.type	_Z33tail_segmented_warp_reduce_kernelIfhLj64ELj16EENSt9enable_ifIXsr10test_utilsE35device_test_enabled_for_warp_size_vIXT2_EEEvE4typeEPT_PT0_S4_,@function
_Z33tail_segmented_warp_reduce_kernelIfhLj64ELj16EENSt9enable_ifIXsr10test_utilsE35device_test_enabled_for_warp_size_vIXT2_EEEvE4typeEPT_PT0_S4_: ; @_Z33tail_segmented_warp_reduce_kernelIfhLj64ELj16EENSt9enable_ifIXsr10test_utilsE35device_test_enabled_for_warp_size_vIXT2_EEEvE4typeEPT_PT0_S4_
; %bb.0:
	s_load_dword s0, s[4:5], 0x24
	s_load_dwordx4 s[8:11], s[4:5], 0x0
	s_load_dwordx2 s[2:3], s[4:5], 0x10
	v_mov_b32_e32 v1, 0
	s_waitcnt lgkmcnt(0)
	s_and_b32 s0, s0, 0xffff
	s_mul_i32 s6, s6, s0
	v_add_u32_e32 v0, s6, v0
	v_lshlrev_b64 v[2:3], 2, v[0:1]
	v_mov_b32_e32 v1, s9
	global_load_ubyte v4, v0, s[10:11]
	v_add_co_u32_e32 v0, vcc, s8, v2
	v_addc_co_u32_e32 v1, vcc, v1, v3, vcc
	global_load_dword v5, v[0:1], off
	v_mbcnt_lo_u32_b32 v0, -1, 0
	v_mbcnt_hi_u32_b32 v6, -1, v0
	v_and_b32_e32 v8, 15, v6
	v_cmp_ne_u32_e32 vcc, 15, v8
	v_addc_co_u32_e32 v9, vcc, 0, v6, vcc
	v_cmp_gt_u32_e32 vcc, 14, v8
	v_lshlrev_b64 v[0:1], v6, -1
	v_cndmask_b32_e64 v11, 0, 1, vcc
	v_lshlrev_b32_e32 v9, 2, v9
	v_and_b32_e32 v7, 0x70, v6
	v_lshlrev_b32_e32 v11, 1, v11
	v_add_lshl_u32 v11, v11, v6, 2
	v_cmp_gt_u32_e64 s[0:1], 12, v8
	v_add_u32_e32 v10, 2, v8
	v_add_u32_e32 v12, 4, v8
	s_waitcnt vmcnt(1)
	v_cmp_ne_u16_e32 vcc, 0, v4
	v_and_b32_e32 v1, vcc_hi, v1
	v_and_b32_e32 v0, vcc_lo, v0
	v_lshrrev_b64 v[0:1], v7, v[0:1]
	v_or_b32_e32 v0, 0x8000, v0
	s_waitcnt vmcnt(0)
	ds_bpermute_b32 v4, v9, v5
	v_ffbl_b32_e32 v1, v1
	v_add_u32_e32 v1, 32, v1
	v_ffbl_b32_e32 v0, v0
	v_min_u32_e32 v0, v0, v1
	s_waitcnt lgkmcnt(0)
	v_add_f32_e32 v1, v5, v4
	v_cmp_lt_u32_e32 vcc, v8, v0
	v_cndmask_b32_e32 v1, v5, v1, vcc
	ds_bpermute_b32 v4, v11, v1
	v_cndmask_b32_e64 v7, 0, 1, s[0:1]
	v_lshlrev_b32_e32 v7, 2, v7
	v_cmp_gt_u32_e64 s[0:1], v10, v0
	v_add_lshl_u32 v7, v7, v6, 2
	s_waitcnt lgkmcnt(0)
	v_add_f32_e32 v4, v1, v4
	v_cndmask_b32_e64 v1, v4, v1, s[0:1]
	ds_bpermute_b32 v4, v7, v1
	v_cmp_gt_u32_e64 s[0:1], 8, v8
	v_cndmask_b32_e64 v7, 0, 1, s[0:1]
	v_lshlrev_b32_e32 v7, 3, v7
	v_cmp_gt_u32_e64 s[0:1], v12, v0
	s_waitcnt lgkmcnt(0)
	v_add_f32_e32 v4, v1, v4
	v_add_lshl_u32 v6, v7, v6, 2
	v_cndmask_b32_e64 v7, v4, v1, s[0:1]
	ds_bpermute_b32 v6, v6, v7
	v_add_u32_e32 v8, 8, v8
	v_cndmask_b32_e32 v1, v5, v1, vcc
	v_cndmask_b32_e64 v1, v4, v1, s[0:1]
	v_cmp_gt_u32_e32 vcc, v8, v0
	s_waitcnt lgkmcnt(0)
	v_add_f32_e32 v4, v7, v6
	v_mov_b32_e32 v9, s3
	v_cndmask_b32_e32 v4, v4, v1, vcc
	v_add_co_u32_e32 v0, vcc, s2, v2
	v_addc_co_u32_e32 v1, vcc, v9, v3, vcc
	global_store_dword v[0:1], v4, off
	s_endpgm
	.section	.rodata,"a",@progbits
	.p2align	6, 0x0
	.amdhsa_kernel _Z33tail_segmented_warp_reduce_kernelIfhLj64ELj16EENSt9enable_ifIXsr10test_utilsE35device_test_enabled_for_warp_size_vIXT2_EEEvE4typeEPT_PT0_S4_
		.amdhsa_group_segment_fixed_size 0
		.amdhsa_private_segment_fixed_size 0
		.amdhsa_kernarg_size 280
		.amdhsa_user_sgpr_count 6
		.amdhsa_user_sgpr_private_segment_buffer 1
		.amdhsa_user_sgpr_dispatch_ptr 0
		.amdhsa_user_sgpr_queue_ptr 0
		.amdhsa_user_sgpr_kernarg_segment_ptr 1
		.amdhsa_user_sgpr_dispatch_id 0
		.amdhsa_user_sgpr_flat_scratch_init 0
		.amdhsa_user_sgpr_kernarg_preload_length 0
		.amdhsa_user_sgpr_kernarg_preload_offset 0
		.amdhsa_user_sgpr_private_segment_size 0
		.amdhsa_uses_dynamic_stack 0
		.amdhsa_system_sgpr_private_segment_wavefront_offset 0
		.amdhsa_system_sgpr_workgroup_id_x 1
		.amdhsa_system_sgpr_workgroup_id_y 0
		.amdhsa_system_sgpr_workgroup_id_z 0
		.amdhsa_system_sgpr_workgroup_info 0
		.amdhsa_system_vgpr_workitem_id 0
		.amdhsa_next_free_vgpr 13
		.amdhsa_next_free_sgpr 12
		.amdhsa_accum_offset 16
		.amdhsa_reserve_vcc 1
		.amdhsa_reserve_flat_scratch 0
		.amdhsa_float_round_mode_32 0
		.amdhsa_float_round_mode_16_64 0
		.amdhsa_float_denorm_mode_32 3
		.amdhsa_float_denorm_mode_16_64 3
		.amdhsa_dx10_clamp 1
		.amdhsa_ieee_mode 1
		.amdhsa_fp16_overflow 0
		.amdhsa_tg_split 0
		.amdhsa_exception_fp_ieee_invalid_op 0
		.amdhsa_exception_fp_denorm_src 0
		.amdhsa_exception_fp_ieee_div_zero 0
		.amdhsa_exception_fp_ieee_overflow 0
		.amdhsa_exception_fp_ieee_underflow 0
		.amdhsa_exception_fp_ieee_inexact 0
		.amdhsa_exception_int_div_zero 0
	.end_amdhsa_kernel
	.section	.text._Z33tail_segmented_warp_reduce_kernelIfhLj64ELj16EENSt9enable_ifIXsr10test_utilsE35device_test_enabled_for_warp_size_vIXT2_EEEvE4typeEPT_PT0_S4_,"axG",@progbits,_Z33tail_segmented_warp_reduce_kernelIfhLj64ELj16EENSt9enable_ifIXsr10test_utilsE35device_test_enabled_for_warp_size_vIXT2_EEEvE4typeEPT_PT0_S4_,comdat
.Lfunc_end236:
	.size	_Z33tail_segmented_warp_reduce_kernelIfhLj64ELj16EENSt9enable_ifIXsr10test_utilsE35device_test_enabled_for_warp_size_vIXT2_EEEvE4typeEPT_PT0_S4_, .Lfunc_end236-_Z33tail_segmented_warp_reduce_kernelIfhLj64ELj16EENSt9enable_ifIXsr10test_utilsE35device_test_enabled_for_warp_size_vIXT2_EEEvE4typeEPT_PT0_S4_
                                        ; -- End function
	.section	.AMDGPU.csdata,"",@progbits
; Kernel info:
; codeLenInByte = 424
; NumSgprs: 16
; NumVgprs: 13
; NumAgprs: 0
; TotalNumVgprs: 13
; ScratchSize: 0
; MemoryBound: 0
; FloatMode: 240
; IeeeMode: 1
; LDSByteSize: 0 bytes/workgroup (compile time only)
; SGPRBlocks: 1
; VGPRBlocks: 1
; NumSGPRsForWavesPerEU: 16
; NumVGPRsForWavesPerEU: 13
; AccumOffset: 16
; Occupancy: 8
; WaveLimiterHint : 0
; COMPUTE_PGM_RSRC2:SCRATCH_EN: 0
; COMPUTE_PGM_RSRC2:USER_SGPR: 6
; COMPUTE_PGM_RSRC2:TRAP_HANDLER: 0
; COMPUTE_PGM_RSRC2:TGID_X_EN: 1
; COMPUTE_PGM_RSRC2:TGID_Y_EN: 0
; COMPUTE_PGM_RSRC2:TGID_Z_EN: 0
; COMPUTE_PGM_RSRC2:TIDIG_COMP_CNT: 0
; COMPUTE_PGM_RSRC3_GFX90A:ACCUM_OFFSET: 3
; COMPUTE_PGM_RSRC3_GFX90A:TG_SPLIT: 0
	.section	.text._Z33tail_segmented_warp_reduce_kernelIfhLj32ELj8EENSt9enable_ifIXsr10test_utilsE35device_test_enabled_for_warp_size_vIXT2_EEEvE4typeEPT_PT0_S4_,"axG",@progbits,_Z33tail_segmented_warp_reduce_kernelIfhLj32ELj8EENSt9enable_ifIXsr10test_utilsE35device_test_enabled_for_warp_size_vIXT2_EEEvE4typeEPT_PT0_S4_,comdat
	.protected	_Z33tail_segmented_warp_reduce_kernelIfhLj32ELj8EENSt9enable_ifIXsr10test_utilsE35device_test_enabled_for_warp_size_vIXT2_EEEvE4typeEPT_PT0_S4_ ; -- Begin function _Z33tail_segmented_warp_reduce_kernelIfhLj32ELj8EENSt9enable_ifIXsr10test_utilsE35device_test_enabled_for_warp_size_vIXT2_EEEvE4typeEPT_PT0_S4_
	.globl	_Z33tail_segmented_warp_reduce_kernelIfhLj32ELj8EENSt9enable_ifIXsr10test_utilsE35device_test_enabled_for_warp_size_vIXT2_EEEvE4typeEPT_PT0_S4_
	.p2align	8
	.type	_Z33tail_segmented_warp_reduce_kernelIfhLj32ELj8EENSt9enable_ifIXsr10test_utilsE35device_test_enabled_for_warp_size_vIXT2_EEEvE4typeEPT_PT0_S4_,@function
_Z33tail_segmented_warp_reduce_kernelIfhLj32ELj8EENSt9enable_ifIXsr10test_utilsE35device_test_enabled_for_warp_size_vIXT2_EEEvE4typeEPT_PT0_S4_: ; @_Z33tail_segmented_warp_reduce_kernelIfhLj32ELj8EENSt9enable_ifIXsr10test_utilsE35device_test_enabled_for_warp_size_vIXT2_EEEvE4typeEPT_PT0_S4_
; %bb.0:
	s_load_dword s7, s[4:5], 0x24
	s_load_dwordx4 s[0:3], s[4:5], 0x0
	s_load_dwordx2 s[8:9], s[4:5], 0x10
	v_mov_b32_e32 v1, 0
	s_waitcnt lgkmcnt(0)
	s_and_b32 s4, s7, 0xffff
	s_mul_i32 s6, s6, s4
	v_add_u32_e32 v0, s6, v0
	v_lshlrev_b64 v[2:3], 2, v[0:1]
	v_mov_b32_e32 v1, s1
	global_load_ubyte v4, v0, s[2:3]
	v_add_co_u32_e32 v0, vcc, s0, v2
	v_addc_co_u32_e32 v1, vcc, v1, v3, vcc
	global_load_dword v5, v[0:1], off
	v_mbcnt_lo_u32_b32 v0, -1, 0
	v_mbcnt_hi_u32_b32 v6, -1, v0
	v_and_b32_e32 v8, 7, v6
	v_cmp_ne_u32_e32 vcc, 7, v8
	v_addc_co_u32_e32 v9, vcc, 0, v6, vcc
	v_cmp_gt_u32_e32 vcc, 6, v8
	v_lshlrev_b64 v[0:1], v6, -1
	v_cndmask_b32_e64 v11, 0, 1, vcc
	v_lshlrev_b32_e32 v9, 2, v9
	v_and_b32_e32 v7, 0x78, v6
	v_lshlrev_b32_e32 v11, 1, v11
	v_add_lshl_u32 v11, v11, v6, 2
	v_cmp_gt_u32_e64 s[0:1], 4, v8
	v_add_u32_e32 v10, 2, v8
	s_waitcnt vmcnt(1)
	v_cmp_ne_u16_e32 vcc, 0, v4
	v_and_b32_e32 v1, vcc_hi, v1
	v_and_b32_e32 v0, vcc_lo, v0
	v_lshrrev_b64 v[0:1], v7, v[0:1]
	v_or_b32_e32 v0, 0x80, v0
	s_waitcnt vmcnt(0)
	ds_bpermute_b32 v4, v9, v5
	v_ffbl_b32_e32 v1, v1
	v_add_u32_e32 v1, 32, v1
	v_ffbl_b32_e32 v0, v0
	v_min_u32_e32 v0, v0, v1
	s_waitcnt lgkmcnt(0)
	v_add_f32_e32 v1, v5, v4
	v_cmp_lt_u32_e32 vcc, v8, v0
	v_cndmask_b32_e32 v1, v5, v1, vcc
	ds_bpermute_b32 v4, v11, v1
	v_cndmask_b32_e64 v7, 0, 1, s[0:1]
	v_lshlrev_b32_e32 v7, 2, v7
	v_cmp_gt_u32_e64 s[0:1], v10, v0
	v_add_lshl_u32 v6, v7, v6, 2
	s_waitcnt lgkmcnt(0)
	v_add_f32_e32 v4, v1, v4
	v_cndmask_b32_e64 v1, v4, v1, s[0:1]
	ds_bpermute_b32 v4, v6, v1
	v_add_u32_e32 v6, 4, v8
	v_cndmask_b32_e32 v5, v5, v1, vcc
	v_cmp_gt_u32_e32 vcc, v6, v0
	v_mov_b32_e32 v7, s9
	s_waitcnt lgkmcnt(0)
	v_add_f32_e32 v1, v1, v4
	v_cndmask_b32_e32 v4, v1, v5, vcc
	v_add_co_u32_e32 v0, vcc, s8, v2
	v_addc_co_u32_e32 v1, vcc, v7, v3, vcc
	global_store_dword v[0:1], v4, off
	s_endpgm
	.section	.rodata,"a",@progbits
	.p2align	6, 0x0
	.amdhsa_kernel _Z33tail_segmented_warp_reduce_kernelIfhLj32ELj8EENSt9enable_ifIXsr10test_utilsE35device_test_enabled_for_warp_size_vIXT2_EEEvE4typeEPT_PT0_S4_
		.amdhsa_group_segment_fixed_size 0
		.amdhsa_private_segment_fixed_size 0
		.amdhsa_kernarg_size 280
		.amdhsa_user_sgpr_count 6
		.amdhsa_user_sgpr_private_segment_buffer 1
		.amdhsa_user_sgpr_dispatch_ptr 0
		.amdhsa_user_sgpr_queue_ptr 0
		.amdhsa_user_sgpr_kernarg_segment_ptr 1
		.amdhsa_user_sgpr_dispatch_id 0
		.amdhsa_user_sgpr_flat_scratch_init 0
		.amdhsa_user_sgpr_kernarg_preload_length 0
		.amdhsa_user_sgpr_kernarg_preload_offset 0
		.amdhsa_user_sgpr_private_segment_size 0
		.amdhsa_uses_dynamic_stack 0
		.amdhsa_system_sgpr_private_segment_wavefront_offset 0
		.amdhsa_system_sgpr_workgroup_id_x 1
		.amdhsa_system_sgpr_workgroup_id_y 0
		.amdhsa_system_sgpr_workgroup_id_z 0
		.amdhsa_system_sgpr_workgroup_info 0
		.amdhsa_system_vgpr_workitem_id 0
		.amdhsa_next_free_vgpr 12
		.amdhsa_next_free_sgpr 10
		.amdhsa_accum_offset 12
		.amdhsa_reserve_vcc 1
		.amdhsa_reserve_flat_scratch 0
		.amdhsa_float_round_mode_32 0
		.amdhsa_float_round_mode_16_64 0
		.amdhsa_float_denorm_mode_32 3
		.amdhsa_float_denorm_mode_16_64 3
		.amdhsa_dx10_clamp 1
		.amdhsa_ieee_mode 1
		.amdhsa_fp16_overflow 0
		.amdhsa_tg_split 0
		.amdhsa_exception_fp_ieee_invalid_op 0
		.amdhsa_exception_fp_denorm_src 0
		.amdhsa_exception_fp_ieee_div_zero 0
		.amdhsa_exception_fp_ieee_overflow 0
		.amdhsa_exception_fp_ieee_underflow 0
		.amdhsa_exception_fp_ieee_inexact 0
		.amdhsa_exception_int_div_zero 0
	.end_amdhsa_kernel
	.section	.text._Z33tail_segmented_warp_reduce_kernelIfhLj32ELj8EENSt9enable_ifIXsr10test_utilsE35device_test_enabled_for_warp_size_vIXT2_EEEvE4typeEPT_PT0_S4_,"axG",@progbits,_Z33tail_segmented_warp_reduce_kernelIfhLj32ELj8EENSt9enable_ifIXsr10test_utilsE35device_test_enabled_for_warp_size_vIXT2_EEEvE4typeEPT_PT0_S4_,comdat
.Lfunc_end237:
	.size	_Z33tail_segmented_warp_reduce_kernelIfhLj32ELj8EENSt9enable_ifIXsr10test_utilsE35device_test_enabled_for_warp_size_vIXT2_EEEvE4typeEPT_PT0_S4_, .Lfunc_end237-_Z33tail_segmented_warp_reduce_kernelIfhLj32ELj8EENSt9enable_ifIXsr10test_utilsE35device_test_enabled_for_warp_size_vIXT2_EEEvE4typeEPT_PT0_S4_
                                        ; -- End function
	.section	.AMDGPU.csdata,"",@progbits
; Kernel info:
; codeLenInByte = 352
; NumSgprs: 14
; NumVgprs: 12
; NumAgprs: 0
; TotalNumVgprs: 12
; ScratchSize: 0
; MemoryBound: 0
; FloatMode: 240
; IeeeMode: 1
; LDSByteSize: 0 bytes/workgroup (compile time only)
; SGPRBlocks: 1
; VGPRBlocks: 1
; NumSGPRsForWavesPerEU: 14
; NumVGPRsForWavesPerEU: 12
; AccumOffset: 12
; Occupancy: 8
; WaveLimiterHint : 0
; COMPUTE_PGM_RSRC2:SCRATCH_EN: 0
; COMPUTE_PGM_RSRC2:USER_SGPR: 6
; COMPUTE_PGM_RSRC2:TRAP_HANDLER: 0
; COMPUTE_PGM_RSRC2:TGID_X_EN: 1
; COMPUTE_PGM_RSRC2:TGID_Y_EN: 0
; COMPUTE_PGM_RSRC2:TGID_Z_EN: 0
; COMPUTE_PGM_RSRC2:TIDIG_COMP_CNT: 0
; COMPUTE_PGM_RSRC3_GFX90A:ACCUM_OFFSET: 2
; COMPUTE_PGM_RSRC3_GFX90A:TG_SPLIT: 0
	.section	.text._Z33tail_segmented_warp_reduce_kernelIfhLj64ELj8EENSt9enable_ifIXsr10test_utilsE35device_test_enabled_for_warp_size_vIXT2_EEEvE4typeEPT_PT0_S4_,"axG",@progbits,_Z33tail_segmented_warp_reduce_kernelIfhLj64ELj8EENSt9enable_ifIXsr10test_utilsE35device_test_enabled_for_warp_size_vIXT2_EEEvE4typeEPT_PT0_S4_,comdat
	.protected	_Z33tail_segmented_warp_reduce_kernelIfhLj64ELj8EENSt9enable_ifIXsr10test_utilsE35device_test_enabled_for_warp_size_vIXT2_EEEvE4typeEPT_PT0_S4_ ; -- Begin function _Z33tail_segmented_warp_reduce_kernelIfhLj64ELj8EENSt9enable_ifIXsr10test_utilsE35device_test_enabled_for_warp_size_vIXT2_EEEvE4typeEPT_PT0_S4_
	.globl	_Z33tail_segmented_warp_reduce_kernelIfhLj64ELj8EENSt9enable_ifIXsr10test_utilsE35device_test_enabled_for_warp_size_vIXT2_EEEvE4typeEPT_PT0_S4_
	.p2align	8
	.type	_Z33tail_segmented_warp_reduce_kernelIfhLj64ELj8EENSt9enable_ifIXsr10test_utilsE35device_test_enabled_for_warp_size_vIXT2_EEEvE4typeEPT_PT0_S4_,@function
_Z33tail_segmented_warp_reduce_kernelIfhLj64ELj8EENSt9enable_ifIXsr10test_utilsE35device_test_enabled_for_warp_size_vIXT2_EEEvE4typeEPT_PT0_S4_: ; @_Z33tail_segmented_warp_reduce_kernelIfhLj64ELj8EENSt9enable_ifIXsr10test_utilsE35device_test_enabled_for_warp_size_vIXT2_EEEvE4typeEPT_PT0_S4_
; %bb.0:
	s_load_dword s7, s[4:5], 0x24
	s_load_dwordx4 s[0:3], s[4:5], 0x0
	s_load_dwordx2 s[8:9], s[4:5], 0x10
	v_mov_b32_e32 v1, 0
	s_waitcnt lgkmcnt(0)
	s_and_b32 s4, s7, 0xffff
	s_mul_i32 s6, s6, s4
	v_add_u32_e32 v0, s6, v0
	v_lshlrev_b64 v[2:3], 2, v[0:1]
	v_mov_b32_e32 v1, s1
	global_load_ubyte v4, v0, s[2:3]
	v_add_co_u32_e32 v0, vcc, s0, v2
	v_addc_co_u32_e32 v1, vcc, v1, v3, vcc
	global_load_dword v5, v[0:1], off
	v_mbcnt_lo_u32_b32 v0, -1, 0
	v_mbcnt_hi_u32_b32 v6, -1, v0
	v_and_b32_e32 v8, 7, v6
	v_cmp_ne_u32_e32 vcc, 7, v8
	v_addc_co_u32_e32 v9, vcc, 0, v6, vcc
	v_cmp_gt_u32_e32 vcc, 6, v8
	v_lshlrev_b64 v[0:1], v6, -1
	v_cndmask_b32_e64 v11, 0, 1, vcc
	v_lshlrev_b32_e32 v9, 2, v9
	v_and_b32_e32 v7, 0x78, v6
	v_lshlrev_b32_e32 v11, 1, v11
	v_add_lshl_u32 v11, v11, v6, 2
	v_cmp_gt_u32_e64 s[0:1], 4, v8
	v_add_u32_e32 v10, 2, v8
	s_waitcnt vmcnt(1)
	v_cmp_ne_u16_e32 vcc, 0, v4
	v_and_b32_e32 v1, vcc_hi, v1
	v_and_b32_e32 v0, vcc_lo, v0
	v_lshrrev_b64 v[0:1], v7, v[0:1]
	v_or_b32_e32 v0, 0x80, v0
	s_waitcnt vmcnt(0)
	ds_bpermute_b32 v4, v9, v5
	v_ffbl_b32_e32 v1, v1
	v_add_u32_e32 v1, 32, v1
	v_ffbl_b32_e32 v0, v0
	v_min_u32_e32 v0, v0, v1
	s_waitcnt lgkmcnt(0)
	v_add_f32_e32 v1, v5, v4
	v_cmp_lt_u32_e32 vcc, v8, v0
	v_cndmask_b32_e32 v1, v5, v1, vcc
	ds_bpermute_b32 v4, v11, v1
	v_cndmask_b32_e64 v7, 0, 1, s[0:1]
	v_lshlrev_b32_e32 v7, 2, v7
	v_cmp_gt_u32_e64 s[0:1], v10, v0
	v_add_lshl_u32 v6, v7, v6, 2
	s_waitcnt lgkmcnt(0)
	v_add_f32_e32 v4, v1, v4
	v_cndmask_b32_e64 v1, v4, v1, s[0:1]
	ds_bpermute_b32 v4, v6, v1
	v_add_u32_e32 v6, 4, v8
	v_cndmask_b32_e32 v5, v5, v1, vcc
	v_cmp_gt_u32_e32 vcc, v6, v0
	v_mov_b32_e32 v7, s9
	s_waitcnt lgkmcnt(0)
	v_add_f32_e32 v1, v1, v4
	v_cndmask_b32_e32 v4, v1, v5, vcc
	v_add_co_u32_e32 v0, vcc, s8, v2
	v_addc_co_u32_e32 v1, vcc, v7, v3, vcc
	global_store_dword v[0:1], v4, off
	s_endpgm
	.section	.rodata,"a",@progbits
	.p2align	6, 0x0
	.amdhsa_kernel _Z33tail_segmented_warp_reduce_kernelIfhLj64ELj8EENSt9enable_ifIXsr10test_utilsE35device_test_enabled_for_warp_size_vIXT2_EEEvE4typeEPT_PT0_S4_
		.amdhsa_group_segment_fixed_size 0
		.amdhsa_private_segment_fixed_size 0
		.amdhsa_kernarg_size 280
		.amdhsa_user_sgpr_count 6
		.amdhsa_user_sgpr_private_segment_buffer 1
		.amdhsa_user_sgpr_dispatch_ptr 0
		.amdhsa_user_sgpr_queue_ptr 0
		.amdhsa_user_sgpr_kernarg_segment_ptr 1
		.amdhsa_user_sgpr_dispatch_id 0
		.amdhsa_user_sgpr_flat_scratch_init 0
		.amdhsa_user_sgpr_kernarg_preload_length 0
		.amdhsa_user_sgpr_kernarg_preload_offset 0
		.amdhsa_user_sgpr_private_segment_size 0
		.amdhsa_uses_dynamic_stack 0
		.amdhsa_system_sgpr_private_segment_wavefront_offset 0
		.amdhsa_system_sgpr_workgroup_id_x 1
		.amdhsa_system_sgpr_workgroup_id_y 0
		.amdhsa_system_sgpr_workgroup_id_z 0
		.amdhsa_system_sgpr_workgroup_info 0
		.amdhsa_system_vgpr_workitem_id 0
		.amdhsa_next_free_vgpr 12
		.amdhsa_next_free_sgpr 10
		.amdhsa_accum_offset 12
		.amdhsa_reserve_vcc 1
		.amdhsa_reserve_flat_scratch 0
		.amdhsa_float_round_mode_32 0
		.amdhsa_float_round_mode_16_64 0
		.amdhsa_float_denorm_mode_32 3
		.amdhsa_float_denorm_mode_16_64 3
		.amdhsa_dx10_clamp 1
		.amdhsa_ieee_mode 1
		.amdhsa_fp16_overflow 0
		.amdhsa_tg_split 0
		.amdhsa_exception_fp_ieee_invalid_op 0
		.amdhsa_exception_fp_denorm_src 0
		.amdhsa_exception_fp_ieee_div_zero 0
		.amdhsa_exception_fp_ieee_overflow 0
		.amdhsa_exception_fp_ieee_underflow 0
		.amdhsa_exception_fp_ieee_inexact 0
		.amdhsa_exception_int_div_zero 0
	.end_amdhsa_kernel
	.section	.text._Z33tail_segmented_warp_reduce_kernelIfhLj64ELj8EENSt9enable_ifIXsr10test_utilsE35device_test_enabled_for_warp_size_vIXT2_EEEvE4typeEPT_PT0_S4_,"axG",@progbits,_Z33tail_segmented_warp_reduce_kernelIfhLj64ELj8EENSt9enable_ifIXsr10test_utilsE35device_test_enabled_for_warp_size_vIXT2_EEEvE4typeEPT_PT0_S4_,comdat
.Lfunc_end238:
	.size	_Z33tail_segmented_warp_reduce_kernelIfhLj64ELj8EENSt9enable_ifIXsr10test_utilsE35device_test_enabled_for_warp_size_vIXT2_EEEvE4typeEPT_PT0_S4_, .Lfunc_end238-_Z33tail_segmented_warp_reduce_kernelIfhLj64ELj8EENSt9enable_ifIXsr10test_utilsE35device_test_enabled_for_warp_size_vIXT2_EEEvE4typeEPT_PT0_S4_
                                        ; -- End function
	.section	.AMDGPU.csdata,"",@progbits
; Kernel info:
; codeLenInByte = 352
; NumSgprs: 14
; NumVgprs: 12
; NumAgprs: 0
; TotalNumVgprs: 12
; ScratchSize: 0
; MemoryBound: 0
; FloatMode: 240
; IeeeMode: 1
; LDSByteSize: 0 bytes/workgroup (compile time only)
; SGPRBlocks: 1
; VGPRBlocks: 1
; NumSGPRsForWavesPerEU: 14
; NumVGPRsForWavesPerEU: 12
; AccumOffset: 12
; Occupancy: 8
; WaveLimiterHint : 0
; COMPUTE_PGM_RSRC2:SCRATCH_EN: 0
; COMPUTE_PGM_RSRC2:USER_SGPR: 6
; COMPUTE_PGM_RSRC2:TRAP_HANDLER: 0
; COMPUTE_PGM_RSRC2:TGID_X_EN: 1
; COMPUTE_PGM_RSRC2:TGID_Y_EN: 0
; COMPUTE_PGM_RSRC2:TGID_Z_EN: 0
; COMPUTE_PGM_RSRC2:TIDIG_COMP_CNT: 0
; COMPUTE_PGM_RSRC3_GFX90A:ACCUM_OFFSET: 2
; COMPUTE_PGM_RSRC3_GFX90A:TG_SPLIT: 0
	.section	.text._Z33tail_segmented_warp_reduce_kernelIfhLj32ELj4EENSt9enable_ifIXsr10test_utilsE35device_test_enabled_for_warp_size_vIXT2_EEEvE4typeEPT_PT0_S4_,"axG",@progbits,_Z33tail_segmented_warp_reduce_kernelIfhLj32ELj4EENSt9enable_ifIXsr10test_utilsE35device_test_enabled_for_warp_size_vIXT2_EEEvE4typeEPT_PT0_S4_,comdat
	.protected	_Z33tail_segmented_warp_reduce_kernelIfhLj32ELj4EENSt9enable_ifIXsr10test_utilsE35device_test_enabled_for_warp_size_vIXT2_EEEvE4typeEPT_PT0_S4_ ; -- Begin function _Z33tail_segmented_warp_reduce_kernelIfhLj32ELj4EENSt9enable_ifIXsr10test_utilsE35device_test_enabled_for_warp_size_vIXT2_EEEvE4typeEPT_PT0_S4_
	.globl	_Z33tail_segmented_warp_reduce_kernelIfhLj32ELj4EENSt9enable_ifIXsr10test_utilsE35device_test_enabled_for_warp_size_vIXT2_EEEvE4typeEPT_PT0_S4_
	.p2align	8
	.type	_Z33tail_segmented_warp_reduce_kernelIfhLj32ELj4EENSt9enable_ifIXsr10test_utilsE35device_test_enabled_for_warp_size_vIXT2_EEEvE4typeEPT_PT0_S4_,@function
_Z33tail_segmented_warp_reduce_kernelIfhLj32ELj4EENSt9enable_ifIXsr10test_utilsE35device_test_enabled_for_warp_size_vIXT2_EEEvE4typeEPT_PT0_S4_: ; @_Z33tail_segmented_warp_reduce_kernelIfhLj32ELj4EENSt9enable_ifIXsr10test_utilsE35device_test_enabled_for_warp_size_vIXT2_EEEvE4typeEPT_PT0_S4_
; %bb.0:
	s_load_dword s7, s[4:5], 0x24
	s_load_dwordx4 s[0:3], s[4:5], 0x0
	s_load_dwordx2 s[8:9], s[4:5], 0x10
	v_mov_b32_e32 v1, 0
	s_waitcnt lgkmcnt(0)
	s_and_b32 s4, s7, 0xffff
	s_mul_i32 s6, s6, s4
	v_add_u32_e32 v0, s6, v0
	v_lshlrev_b64 v[2:3], 2, v[0:1]
	v_mov_b32_e32 v1, s1
	global_load_ubyte v4, v0, s[2:3]
	v_add_co_u32_e32 v0, vcc, s0, v2
	v_addc_co_u32_e32 v1, vcc, v1, v3, vcc
	global_load_dword v5, v[0:1], off
	v_mbcnt_lo_u32_b32 v0, -1, 0
	v_mbcnt_hi_u32_b32 v6, -1, v0
	v_and_b32_e32 v8, 3, v6
	v_cmp_ne_u32_e32 vcc, 3, v8
	v_addc_co_u32_e32 v9, vcc, 0, v6, vcc
	v_cmp_gt_u32_e32 vcc, 2, v8
	v_lshlrev_b64 v[0:1], v6, -1
	v_cndmask_b32_e64 v10, 0, 1, vcc
	v_lshlrev_b32_e32 v9, 2, v9
	v_and_b32_e32 v7, 0x7c, v6
	v_lshlrev_b32_e32 v10, 1, v10
	v_add_lshl_u32 v6, v10, v6, 2
	s_waitcnt vmcnt(1)
	v_cmp_ne_u16_e32 vcc, 0, v4
	v_and_b32_e32 v1, vcc_hi, v1
	v_and_b32_e32 v0, vcc_lo, v0
	v_lshrrev_b64 v[0:1], v7, v[0:1]
	v_or_b32_e32 v0, 8, v0
	s_waitcnt vmcnt(0)
	ds_bpermute_b32 v4, v9, v5
	v_ffbl_b32_e32 v1, v1
	v_add_u32_e32 v1, 32, v1
	v_ffbl_b32_e32 v0, v0
	v_min_u32_e32 v0, v0, v1
	s_waitcnt lgkmcnt(0)
	v_add_f32_e32 v1, v5, v4
	v_cmp_lt_u32_e32 vcc, v8, v0
	v_cndmask_b32_e32 v1, v5, v1, vcc
	ds_bpermute_b32 v4, v6, v1
	v_add_u32_e32 v6, 2, v8
	v_cmp_gt_u32_e64 s[0:1], v6, v0
	v_mov_b32_e32 v7, s9
	s_waitcnt lgkmcnt(0)
	v_add_f32_e32 v4, v1, v4
	v_cndmask_b32_e64 v0, v4, v1, s[0:1]
	v_cndmask_b32_e32 v4, v5, v0, vcc
	v_add_co_u32_e32 v0, vcc, s8, v2
	v_addc_co_u32_e32 v1, vcc, v7, v3, vcc
	global_store_dword v[0:1], v4, off
	s_endpgm
	.section	.rodata,"a",@progbits
	.p2align	6, 0x0
	.amdhsa_kernel _Z33tail_segmented_warp_reduce_kernelIfhLj32ELj4EENSt9enable_ifIXsr10test_utilsE35device_test_enabled_for_warp_size_vIXT2_EEEvE4typeEPT_PT0_S4_
		.amdhsa_group_segment_fixed_size 0
		.amdhsa_private_segment_fixed_size 0
		.amdhsa_kernarg_size 280
		.amdhsa_user_sgpr_count 6
		.amdhsa_user_sgpr_private_segment_buffer 1
		.amdhsa_user_sgpr_dispatch_ptr 0
		.amdhsa_user_sgpr_queue_ptr 0
		.amdhsa_user_sgpr_kernarg_segment_ptr 1
		.amdhsa_user_sgpr_dispatch_id 0
		.amdhsa_user_sgpr_flat_scratch_init 0
		.amdhsa_user_sgpr_kernarg_preload_length 0
		.amdhsa_user_sgpr_kernarg_preload_offset 0
		.amdhsa_user_sgpr_private_segment_size 0
		.amdhsa_uses_dynamic_stack 0
		.amdhsa_system_sgpr_private_segment_wavefront_offset 0
		.amdhsa_system_sgpr_workgroup_id_x 1
		.amdhsa_system_sgpr_workgroup_id_y 0
		.amdhsa_system_sgpr_workgroup_id_z 0
		.amdhsa_system_sgpr_workgroup_info 0
		.amdhsa_system_vgpr_workitem_id 0
		.amdhsa_next_free_vgpr 11
		.amdhsa_next_free_sgpr 10
		.amdhsa_accum_offset 12
		.amdhsa_reserve_vcc 1
		.amdhsa_reserve_flat_scratch 0
		.amdhsa_float_round_mode_32 0
		.amdhsa_float_round_mode_16_64 0
		.amdhsa_float_denorm_mode_32 3
		.amdhsa_float_denorm_mode_16_64 3
		.amdhsa_dx10_clamp 1
		.amdhsa_ieee_mode 1
		.amdhsa_fp16_overflow 0
		.amdhsa_tg_split 0
		.amdhsa_exception_fp_ieee_invalid_op 0
		.amdhsa_exception_fp_denorm_src 0
		.amdhsa_exception_fp_ieee_div_zero 0
		.amdhsa_exception_fp_ieee_overflow 0
		.amdhsa_exception_fp_ieee_underflow 0
		.amdhsa_exception_fp_ieee_inexact 0
		.amdhsa_exception_int_div_zero 0
	.end_amdhsa_kernel
	.section	.text._Z33tail_segmented_warp_reduce_kernelIfhLj32ELj4EENSt9enable_ifIXsr10test_utilsE35device_test_enabled_for_warp_size_vIXT2_EEEvE4typeEPT_PT0_S4_,"axG",@progbits,_Z33tail_segmented_warp_reduce_kernelIfhLj32ELj4EENSt9enable_ifIXsr10test_utilsE35device_test_enabled_for_warp_size_vIXT2_EEEvE4typeEPT_PT0_S4_,comdat
.Lfunc_end239:
	.size	_Z33tail_segmented_warp_reduce_kernelIfhLj32ELj4EENSt9enable_ifIXsr10test_utilsE35device_test_enabled_for_warp_size_vIXT2_EEEvE4typeEPT_PT0_S4_, .Lfunc_end239-_Z33tail_segmented_warp_reduce_kernelIfhLj32ELj4EENSt9enable_ifIXsr10test_utilsE35device_test_enabled_for_warp_size_vIXT2_EEEvE4typeEPT_PT0_S4_
                                        ; -- End function
	.section	.AMDGPU.csdata,"",@progbits
; Kernel info:
; codeLenInByte = 292
; NumSgprs: 14
; NumVgprs: 11
; NumAgprs: 0
; TotalNumVgprs: 11
; ScratchSize: 0
; MemoryBound: 0
; FloatMode: 240
; IeeeMode: 1
; LDSByteSize: 0 bytes/workgroup (compile time only)
; SGPRBlocks: 1
; VGPRBlocks: 1
; NumSGPRsForWavesPerEU: 14
; NumVGPRsForWavesPerEU: 11
; AccumOffset: 12
; Occupancy: 8
; WaveLimiterHint : 0
; COMPUTE_PGM_RSRC2:SCRATCH_EN: 0
; COMPUTE_PGM_RSRC2:USER_SGPR: 6
; COMPUTE_PGM_RSRC2:TRAP_HANDLER: 0
; COMPUTE_PGM_RSRC2:TGID_X_EN: 1
; COMPUTE_PGM_RSRC2:TGID_Y_EN: 0
; COMPUTE_PGM_RSRC2:TGID_Z_EN: 0
; COMPUTE_PGM_RSRC2:TIDIG_COMP_CNT: 0
; COMPUTE_PGM_RSRC3_GFX90A:ACCUM_OFFSET: 2
; COMPUTE_PGM_RSRC3_GFX90A:TG_SPLIT: 0
	.section	.text._Z33tail_segmented_warp_reduce_kernelIfhLj64ELj4EENSt9enable_ifIXsr10test_utilsE35device_test_enabled_for_warp_size_vIXT2_EEEvE4typeEPT_PT0_S4_,"axG",@progbits,_Z33tail_segmented_warp_reduce_kernelIfhLj64ELj4EENSt9enable_ifIXsr10test_utilsE35device_test_enabled_for_warp_size_vIXT2_EEEvE4typeEPT_PT0_S4_,comdat
	.protected	_Z33tail_segmented_warp_reduce_kernelIfhLj64ELj4EENSt9enable_ifIXsr10test_utilsE35device_test_enabled_for_warp_size_vIXT2_EEEvE4typeEPT_PT0_S4_ ; -- Begin function _Z33tail_segmented_warp_reduce_kernelIfhLj64ELj4EENSt9enable_ifIXsr10test_utilsE35device_test_enabled_for_warp_size_vIXT2_EEEvE4typeEPT_PT0_S4_
	.globl	_Z33tail_segmented_warp_reduce_kernelIfhLj64ELj4EENSt9enable_ifIXsr10test_utilsE35device_test_enabled_for_warp_size_vIXT2_EEEvE4typeEPT_PT0_S4_
	.p2align	8
	.type	_Z33tail_segmented_warp_reduce_kernelIfhLj64ELj4EENSt9enable_ifIXsr10test_utilsE35device_test_enabled_for_warp_size_vIXT2_EEEvE4typeEPT_PT0_S4_,@function
_Z33tail_segmented_warp_reduce_kernelIfhLj64ELj4EENSt9enable_ifIXsr10test_utilsE35device_test_enabled_for_warp_size_vIXT2_EEEvE4typeEPT_PT0_S4_: ; @_Z33tail_segmented_warp_reduce_kernelIfhLj64ELj4EENSt9enable_ifIXsr10test_utilsE35device_test_enabled_for_warp_size_vIXT2_EEEvE4typeEPT_PT0_S4_
; %bb.0:
	s_load_dword s7, s[4:5], 0x24
	s_load_dwordx4 s[0:3], s[4:5], 0x0
	s_load_dwordx2 s[8:9], s[4:5], 0x10
	v_mov_b32_e32 v1, 0
	s_waitcnt lgkmcnt(0)
	s_and_b32 s4, s7, 0xffff
	s_mul_i32 s6, s6, s4
	v_add_u32_e32 v0, s6, v0
	v_lshlrev_b64 v[2:3], 2, v[0:1]
	v_mov_b32_e32 v1, s1
	global_load_ubyte v4, v0, s[2:3]
	v_add_co_u32_e32 v0, vcc, s0, v2
	v_addc_co_u32_e32 v1, vcc, v1, v3, vcc
	global_load_dword v5, v[0:1], off
	v_mbcnt_lo_u32_b32 v0, -1, 0
	v_mbcnt_hi_u32_b32 v6, -1, v0
	v_and_b32_e32 v8, 3, v6
	v_cmp_ne_u32_e32 vcc, 3, v8
	v_addc_co_u32_e32 v9, vcc, 0, v6, vcc
	v_cmp_gt_u32_e32 vcc, 2, v8
	v_lshlrev_b64 v[0:1], v6, -1
	v_cndmask_b32_e64 v10, 0, 1, vcc
	v_lshlrev_b32_e32 v9, 2, v9
	v_and_b32_e32 v7, 0x7c, v6
	v_lshlrev_b32_e32 v10, 1, v10
	v_add_lshl_u32 v6, v10, v6, 2
	s_waitcnt vmcnt(1)
	v_cmp_ne_u16_e32 vcc, 0, v4
	v_and_b32_e32 v1, vcc_hi, v1
	v_and_b32_e32 v0, vcc_lo, v0
	v_lshrrev_b64 v[0:1], v7, v[0:1]
	v_or_b32_e32 v0, 8, v0
	s_waitcnt vmcnt(0)
	ds_bpermute_b32 v4, v9, v5
	v_ffbl_b32_e32 v1, v1
	v_add_u32_e32 v1, 32, v1
	v_ffbl_b32_e32 v0, v0
	v_min_u32_e32 v0, v0, v1
	s_waitcnt lgkmcnt(0)
	v_add_f32_e32 v1, v5, v4
	v_cmp_lt_u32_e32 vcc, v8, v0
	v_cndmask_b32_e32 v1, v5, v1, vcc
	ds_bpermute_b32 v4, v6, v1
	v_add_u32_e32 v6, 2, v8
	v_cmp_gt_u32_e64 s[0:1], v6, v0
	v_mov_b32_e32 v7, s9
	s_waitcnt lgkmcnt(0)
	v_add_f32_e32 v4, v1, v4
	v_cndmask_b32_e64 v0, v4, v1, s[0:1]
	v_cndmask_b32_e32 v4, v5, v0, vcc
	v_add_co_u32_e32 v0, vcc, s8, v2
	v_addc_co_u32_e32 v1, vcc, v7, v3, vcc
	global_store_dword v[0:1], v4, off
	s_endpgm
	.section	.rodata,"a",@progbits
	.p2align	6, 0x0
	.amdhsa_kernel _Z33tail_segmented_warp_reduce_kernelIfhLj64ELj4EENSt9enable_ifIXsr10test_utilsE35device_test_enabled_for_warp_size_vIXT2_EEEvE4typeEPT_PT0_S4_
		.amdhsa_group_segment_fixed_size 0
		.amdhsa_private_segment_fixed_size 0
		.amdhsa_kernarg_size 280
		.amdhsa_user_sgpr_count 6
		.amdhsa_user_sgpr_private_segment_buffer 1
		.amdhsa_user_sgpr_dispatch_ptr 0
		.amdhsa_user_sgpr_queue_ptr 0
		.amdhsa_user_sgpr_kernarg_segment_ptr 1
		.amdhsa_user_sgpr_dispatch_id 0
		.amdhsa_user_sgpr_flat_scratch_init 0
		.amdhsa_user_sgpr_kernarg_preload_length 0
		.amdhsa_user_sgpr_kernarg_preload_offset 0
		.amdhsa_user_sgpr_private_segment_size 0
		.amdhsa_uses_dynamic_stack 0
		.amdhsa_system_sgpr_private_segment_wavefront_offset 0
		.amdhsa_system_sgpr_workgroup_id_x 1
		.amdhsa_system_sgpr_workgroup_id_y 0
		.amdhsa_system_sgpr_workgroup_id_z 0
		.amdhsa_system_sgpr_workgroup_info 0
		.amdhsa_system_vgpr_workitem_id 0
		.amdhsa_next_free_vgpr 11
		.amdhsa_next_free_sgpr 10
		.amdhsa_accum_offset 12
		.amdhsa_reserve_vcc 1
		.amdhsa_reserve_flat_scratch 0
		.amdhsa_float_round_mode_32 0
		.amdhsa_float_round_mode_16_64 0
		.amdhsa_float_denorm_mode_32 3
		.amdhsa_float_denorm_mode_16_64 3
		.amdhsa_dx10_clamp 1
		.amdhsa_ieee_mode 1
		.amdhsa_fp16_overflow 0
		.amdhsa_tg_split 0
		.amdhsa_exception_fp_ieee_invalid_op 0
		.amdhsa_exception_fp_denorm_src 0
		.amdhsa_exception_fp_ieee_div_zero 0
		.amdhsa_exception_fp_ieee_overflow 0
		.amdhsa_exception_fp_ieee_underflow 0
		.amdhsa_exception_fp_ieee_inexact 0
		.amdhsa_exception_int_div_zero 0
	.end_amdhsa_kernel
	.section	.text._Z33tail_segmented_warp_reduce_kernelIfhLj64ELj4EENSt9enable_ifIXsr10test_utilsE35device_test_enabled_for_warp_size_vIXT2_EEEvE4typeEPT_PT0_S4_,"axG",@progbits,_Z33tail_segmented_warp_reduce_kernelIfhLj64ELj4EENSt9enable_ifIXsr10test_utilsE35device_test_enabled_for_warp_size_vIXT2_EEEvE4typeEPT_PT0_S4_,comdat
.Lfunc_end240:
	.size	_Z33tail_segmented_warp_reduce_kernelIfhLj64ELj4EENSt9enable_ifIXsr10test_utilsE35device_test_enabled_for_warp_size_vIXT2_EEEvE4typeEPT_PT0_S4_, .Lfunc_end240-_Z33tail_segmented_warp_reduce_kernelIfhLj64ELj4EENSt9enable_ifIXsr10test_utilsE35device_test_enabled_for_warp_size_vIXT2_EEEvE4typeEPT_PT0_S4_
                                        ; -- End function
	.section	.AMDGPU.csdata,"",@progbits
; Kernel info:
; codeLenInByte = 292
; NumSgprs: 14
; NumVgprs: 11
; NumAgprs: 0
; TotalNumVgprs: 11
; ScratchSize: 0
; MemoryBound: 0
; FloatMode: 240
; IeeeMode: 1
; LDSByteSize: 0 bytes/workgroup (compile time only)
; SGPRBlocks: 1
; VGPRBlocks: 1
; NumSGPRsForWavesPerEU: 14
; NumVGPRsForWavesPerEU: 11
; AccumOffset: 12
; Occupancy: 8
; WaveLimiterHint : 0
; COMPUTE_PGM_RSRC2:SCRATCH_EN: 0
; COMPUTE_PGM_RSRC2:USER_SGPR: 6
; COMPUTE_PGM_RSRC2:TRAP_HANDLER: 0
; COMPUTE_PGM_RSRC2:TGID_X_EN: 1
; COMPUTE_PGM_RSRC2:TGID_Y_EN: 0
; COMPUTE_PGM_RSRC2:TGID_Z_EN: 0
; COMPUTE_PGM_RSRC2:TIDIG_COMP_CNT: 0
; COMPUTE_PGM_RSRC3_GFX90A:ACCUM_OFFSET: 2
; COMPUTE_PGM_RSRC3_GFX90A:TG_SPLIT: 0
	.section	.text._Z33tail_segmented_warp_reduce_kernelIfhLj32ELj2EENSt9enable_ifIXsr10test_utilsE35device_test_enabled_for_warp_size_vIXT2_EEEvE4typeEPT_PT0_S4_,"axG",@progbits,_Z33tail_segmented_warp_reduce_kernelIfhLj32ELj2EENSt9enable_ifIXsr10test_utilsE35device_test_enabled_for_warp_size_vIXT2_EEEvE4typeEPT_PT0_S4_,comdat
	.protected	_Z33tail_segmented_warp_reduce_kernelIfhLj32ELj2EENSt9enable_ifIXsr10test_utilsE35device_test_enabled_for_warp_size_vIXT2_EEEvE4typeEPT_PT0_S4_ ; -- Begin function _Z33tail_segmented_warp_reduce_kernelIfhLj32ELj2EENSt9enable_ifIXsr10test_utilsE35device_test_enabled_for_warp_size_vIXT2_EEEvE4typeEPT_PT0_S4_
	.globl	_Z33tail_segmented_warp_reduce_kernelIfhLj32ELj2EENSt9enable_ifIXsr10test_utilsE35device_test_enabled_for_warp_size_vIXT2_EEEvE4typeEPT_PT0_S4_
	.p2align	8
	.type	_Z33tail_segmented_warp_reduce_kernelIfhLj32ELj2EENSt9enable_ifIXsr10test_utilsE35device_test_enabled_for_warp_size_vIXT2_EEEvE4typeEPT_PT0_S4_,@function
_Z33tail_segmented_warp_reduce_kernelIfhLj32ELj2EENSt9enable_ifIXsr10test_utilsE35device_test_enabled_for_warp_size_vIXT2_EEEvE4typeEPT_PT0_S4_: ; @_Z33tail_segmented_warp_reduce_kernelIfhLj32ELj2EENSt9enable_ifIXsr10test_utilsE35device_test_enabled_for_warp_size_vIXT2_EEEvE4typeEPT_PT0_S4_
; %bb.0:
	s_load_dword s7, s[4:5], 0x24
	s_load_dwordx4 s[0:3], s[4:5], 0x0
	s_load_dwordx2 s[8:9], s[4:5], 0x10
	v_mov_b32_e32 v1, 0
	s_waitcnt lgkmcnt(0)
	s_and_b32 s4, s7, 0xffff
	s_mul_i32 s6, s6, s4
	v_add_u32_e32 v0, s6, v0
	v_lshlrev_b64 v[2:3], 2, v[0:1]
	v_mov_b32_e32 v1, s1
	global_load_ubyte v4, v0, s[2:3]
	v_add_co_u32_e32 v0, vcc, s0, v2
	v_addc_co_u32_e32 v1, vcc, v1, v3, vcc
	global_load_dword v5, v[0:1], off
	v_mbcnt_lo_u32_b32 v0, -1, 0
	v_mbcnt_hi_u32_b32 v6, -1, v0
	v_lshlrev_b64 v[0:1], v6, -1
	v_and_b32_e32 v7, 0x7e, v6
	v_and_b32_e32 v8, 1, v6
	v_lshl_or_b32 v6, v6, 2, 4
	v_mov_b32_e32 v9, s9
	s_waitcnt vmcnt(1)
	v_cmp_ne_u16_e32 vcc, 0, v4
	v_and_b32_e32 v1, vcc_hi, v1
	v_and_b32_e32 v0, vcc_lo, v0
	v_lshrrev_b64 v[0:1], v7, v[0:1]
	v_or_b32_e32 v0, 2, v0
	s_waitcnt vmcnt(0)
	ds_bpermute_b32 v4, v6, v5
	v_ffbl_b32_e32 v1, v1
	v_add_u32_e32 v1, 32, v1
	v_ffbl_b32_e32 v0, v0
	v_min_u32_e32 v0, v0, v1
	s_waitcnt lgkmcnt(0)
	v_add_f32_e32 v1, v5, v4
	v_cmp_lt_u32_e32 vcc, v8, v0
	v_cndmask_b32_e32 v4, v5, v1, vcc
	v_add_co_u32_e32 v0, vcc, s8, v2
	v_addc_co_u32_e32 v1, vcc, v9, v3, vcc
	global_store_dword v[0:1], v4, off
	s_endpgm
	.section	.rodata,"a",@progbits
	.p2align	6, 0x0
	.amdhsa_kernel _Z33tail_segmented_warp_reduce_kernelIfhLj32ELj2EENSt9enable_ifIXsr10test_utilsE35device_test_enabled_for_warp_size_vIXT2_EEEvE4typeEPT_PT0_S4_
		.amdhsa_group_segment_fixed_size 0
		.amdhsa_private_segment_fixed_size 0
		.amdhsa_kernarg_size 280
		.amdhsa_user_sgpr_count 6
		.amdhsa_user_sgpr_private_segment_buffer 1
		.amdhsa_user_sgpr_dispatch_ptr 0
		.amdhsa_user_sgpr_queue_ptr 0
		.amdhsa_user_sgpr_kernarg_segment_ptr 1
		.amdhsa_user_sgpr_dispatch_id 0
		.amdhsa_user_sgpr_flat_scratch_init 0
		.amdhsa_user_sgpr_kernarg_preload_length 0
		.amdhsa_user_sgpr_kernarg_preload_offset 0
		.amdhsa_user_sgpr_private_segment_size 0
		.amdhsa_uses_dynamic_stack 0
		.amdhsa_system_sgpr_private_segment_wavefront_offset 0
		.amdhsa_system_sgpr_workgroup_id_x 1
		.amdhsa_system_sgpr_workgroup_id_y 0
		.amdhsa_system_sgpr_workgroup_id_z 0
		.amdhsa_system_sgpr_workgroup_info 0
		.amdhsa_system_vgpr_workitem_id 0
		.amdhsa_next_free_vgpr 10
		.amdhsa_next_free_sgpr 10
		.amdhsa_accum_offset 12
		.amdhsa_reserve_vcc 1
		.amdhsa_reserve_flat_scratch 0
		.amdhsa_float_round_mode_32 0
		.amdhsa_float_round_mode_16_64 0
		.amdhsa_float_denorm_mode_32 3
		.amdhsa_float_denorm_mode_16_64 3
		.amdhsa_dx10_clamp 1
		.amdhsa_ieee_mode 1
		.amdhsa_fp16_overflow 0
		.amdhsa_tg_split 0
		.amdhsa_exception_fp_ieee_invalid_op 0
		.amdhsa_exception_fp_denorm_src 0
		.amdhsa_exception_fp_ieee_div_zero 0
		.amdhsa_exception_fp_ieee_overflow 0
		.amdhsa_exception_fp_ieee_underflow 0
		.amdhsa_exception_fp_ieee_inexact 0
		.amdhsa_exception_int_div_zero 0
	.end_amdhsa_kernel
	.section	.text._Z33tail_segmented_warp_reduce_kernelIfhLj32ELj2EENSt9enable_ifIXsr10test_utilsE35device_test_enabled_for_warp_size_vIXT2_EEEvE4typeEPT_PT0_S4_,"axG",@progbits,_Z33tail_segmented_warp_reduce_kernelIfhLj32ELj2EENSt9enable_ifIXsr10test_utilsE35device_test_enabled_for_warp_size_vIXT2_EEEvE4typeEPT_PT0_S4_,comdat
.Lfunc_end241:
	.size	_Z33tail_segmented_warp_reduce_kernelIfhLj32ELj2EENSt9enable_ifIXsr10test_utilsE35device_test_enabled_for_warp_size_vIXT2_EEEvE4typeEPT_PT0_S4_, .Lfunc_end241-_Z33tail_segmented_warp_reduce_kernelIfhLj32ELj2EENSt9enable_ifIXsr10test_utilsE35device_test_enabled_for_warp_size_vIXT2_EEEvE4typeEPT_PT0_S4_
                                        ; -- End function
	.section	.AMDGPU.csdata,"",@progbits
; Kernel info:
; codeLenInByte = 224
; NumSgprs: 14
; NumVgprs: 10
; NumAgprs: 0
; TotalNumVgprs: 10
; ScratchSize: 0
; MemoryBound: 0
; FloatMode: 240
; IeeeMode: 1
; LDSByteSize: 0 bytes/workgroup (compile time only)
; SGPRBlocks: 1
; VGPRBlocks: 1
; NumSGPRsForWavesPerEU: 14
; NumVGPRsForWavesPerEU: 10
; AccumOffset: 12
; Occupancy: 8
; WaveLimiterHint : 0
; COMPUTE_PGM_RSRC2:SCRATCH_EN: 0
; COMPUTE_PGM_RSRC2:USER_SGPR: 6
; COMPUTE_PGM_RSRC2:TRAP_HANDLER: 0
; COMPUTE_PGM_RSRC2:TGID_X_EN: 1
; COMPUTE_PGM_RSRC2:TGID_Y_EN: 0
; COMPUTE_PGM_RSRC2:TGID_Z_EN: 0
; COMPUTE_PGM_RSRC2:TIDIG_COMP_CNT: 0
; COMPUTE_PGM_RSRC3_GFX90A:ACCUM_OFFSET: 2
; COMPUTE_PGM_RSRC3_GFX90A:TG_SPLIT: 0
	.section	.text._Z33tail_segmented_warp_reduce_kernelIfhLj64ELj2EENSt9enable_ifIXsr10test_utilsE35device_test_enabled_for_warp_size_vIXT2_EEEvE4typeEPT_PT0_S4_,"axG",@progbits,_Z33tail_segmented_warp_reduce_kernelIfhLj64ELj2EENSt9enable_ifIXsr10test_utilsE35device_test_enabled_for_warp_size_vIXT2_EEEvE4typeEPT_PT0_S4_,comdat
	.protected	_Z33tail_segmented_warp_reduce_kernelIfhLj64ELj2EENSt9enable_ifIXsr10test_utilsE35device_test_enabled_for_warp_size_vIXT2_EEEvE4typeEPT_PT0_S4_ ; -- Begin function _Z33tail_segmented_warp_reduce_kernelIfhLj64ELj2EENSt9enable_ifIXsr10test_utilsE35device_test_enabled_for_warp_size_vIXT2_EEEvE4typeEPT_PT0_S4_
	.globl	_Z33tail_segmented_warp_reduce_kernelIfhLj64ELj2EENSt9enable_ifIXsr10test_utilsE35device_test_enabled_for_warp_size_vIXT2_EEEvE4typeEPT_PT0_S4_
	.p2align	8
	.type	_Z33tail_segmented_warp_reduce_kernelIfhLj64ELj2EENSt9enable_ifIXsr10test_utilsE35device_test_enabled_for_warp_size_vIXT2_EEEvE4typeEPT_PT0_S4_,@function
_Z33tail_segmented_warp_reduce_kernelIfhLj64ELj2EENSt9enable_ifIXsr10test_utilsE35device_test_enabled_for_warp_size_vIXT2_EEEvE4typeEPT_PT0_S4_: ; @_Z33tail_segmented_warp_reduce_kernelIfhLj64ELj2EENSt9enable_ifIXsr10test_utilsE35device_test_enabled_for_warp_size_vIXT2_EEEvE4typeEPT_PT0_S4_
; %bb.0:
	s_load_dword s7, s[4:5], 0x24
	s_load_dwordx4 s[0:3], s[4:5], 0x0
	s_load_dwordx2 s[8:9], s[4:5], 0x10
	v_mov_b32_e32 v1, 0
	s_waitcnt lgkmcnt(0)
	s_and_b32 s4, s7, 0xffff
	s_mul_i32 s6, s6, s4
	v_add_u32_e32 v0, s6, v0
	v_lshlrev_b64 v[2:3], 2, v[0:1]
	v_mov_b32_e32 v1, s1
	global_load_ubyte v4, v0, s[2:3]
	v_add_co_u32_e32 v0, vcc, s0, v2
	v_addc_co_u32_e32 v1, vcc, v1, v3, vcc
	global_load_dword v5, v[0:1], off
	v_mbcnt_lo_u32_b32 v0, -1, 0
	v_mbcnt_hi_u32_b32 v6, -1, v0
	v_lshlrev_b64 v[0:1], v6, -1
	v_and_b32_e32 v7, 0x7e, v6
	v_and_b32_e32 v8, 1, v6
	v_lshl_or_b32 v6, v6, 2, 4
	v_mov_b32_e32 v9, s9
	s_waitcnt vmcnt(1)
	v_cmp_ne_u16_e32 vcc, 0, v4
	v_and_b32_e32 v1, vcc_hi, v1
	v_and_b32_e32 v0, vcc_lo, v0
	v_lshrrev_b64 v[0:1], v7, v[0:1]
	v_or_b32_e32 v0, 2, v0
	s_waitcnt vmcnt(0)
	ds_bpermute_b32 v4, v6, v5
	v_ffbl_b32_e32 v1, v1
	v_add_u32_e32 v1, 32, v1
	v_ffbl_b32_e32 v0, v0
	v_min_u32_e32 v0, v0, v1
	s_waitcnt lgkmcnt(0)
	v_add_f32_e32 v1, v5, v4
	v_cmp_lt_u32_e32 vcc, v8, v0
	v_cndmask_b32_e32 v4, v5, v1, vcc
	v_add_co_u32_e32 v0, vcc, s8, v2
	v_addc_co_u32_e32 v1, vcc, v9, v3, vcc
	global_store_dword v[0:1], v4, off
	s_endpgm
	.section	.rodata,"a",@progbits
	.p2align	6, 0x0
	.amdhsa_kernel _Z33tail_segmented_warp_reduce_kernelIfhLj64ELj2EENSt9enable_ifIXsr10test_utilsE35device_test_enabled_for_warp_size_vIXT2_EEEvE4typeEPT_PT0_S4_
		.amdhsa_group_segment_fixed_size 0
		.amdhsa_private_segment_fixed_size 0
		.amdhsa_kernarg_size 280
		.amdhsa_user_sgpr_count 6
		.amdhsa_user_sgpr_private_segment_buffer 1
		.amdhsa_user_sgpr_dispatch_ptr 0
		.amdhsa_user_sgpr_queue_ptr 0
		.amdhsa_user_sgpr_kernarg_segment_ptr 1
		.amdhsa_user_sgpr_dispatch_id 0
		.amdhsa_user_sgpr_flat_scratch_init 0
		.amdhsa_user_sgpr_kernarg_preload_length 0
		.amdhsa_user_sgpr_kernarg_preload_offset 0
		.amdhsa_user_sgpr_private_segment_size 0
		.amdhsa_uses_dynamic_stack 0
		.amdhsa_system_sgpr_private_segment_wavefront_offset 0
		.amdhsa_system_sgpr_workgroup_id_x 1
		.amdhsa_system_sgpr_workgroup_id_y 0
		.amdhsa_system_sgpr_workgroup_id_z 0
		.amdhsa_system_sgpr_workgroup_info 0
		.amdhsa_system_vgpr_workitem_id 0
		.amdhsa_next_free_vgpr 10
		.amdhsa_next_free_sgpr 10
		.amdhsa_accum_offset 12
		.amdhsa_reserve_vcc 1
		.amdhsa_reserve_flat_scratch 0
		.amdhsa_float_round_mode_32 0
		.amdhsa_float_round_mode_16_64 0
		.amdhsa_float_denorm_mode_32 3
		.amdhsa_float_denorm_mode_16_64 3
		.amdhsa_dx10_clamp 1
		.amdhsa_ieee_mode 1
		.amdhsa_fp16_overflow 0
		.amdhsa_tg_split 0
		.amdhsa_exception_fp_ieee_invalid_op 0
		.amdhsa_exception_fp_denorm_src 0
		.amdhsa_exception_fp_ieee_div_zero 0
		.amdhsa_exception_fp_ieee_overflow 0
		.amdhsa_exception_fp_ieee_underflow 0
		.amdhsa_exception_fp_ieee_inexact 0
		.amdhsa_exception_int_div_zero 0
	.end_amdhsa_kernel
	.section	.text._Z33tail_segmented_warp_reduce_kernelIfhLj64ELj2EENSt9enable_ifIXsr10test_utilsE35device_test_enabled_for_warp_size_vIXT2_EEEvE4typeEPT_PT0_S4_,"axG",@progbits,_Z33tail_segmented_warp_reduce_kernelIfhLj64ELj2EENSt9enable_ifIXsr10test_utilsE35device_test_enabled_for_warp_size_vIXT2_EEEvE4typeEPT_PT0_S4_,comdat
.Lfunc_end242:
	.size	_Z33tail_segmented_warp_reduce_kernelIfhLj64ELj2EENSt9enable_ifIXsr10test_utilsE35device_test_enabled_for_warp_size_vIXT2_EEEvE4typeEPT_PT0_S4_, .Lfunc_end242-_Z33tail_segmented_warp_reduce_kernelIfhLj64ELj2EENSt9enable_ifIXsr10test_utilsE35device_test_enabled_for_warp_size_vIXT2_EEEvE4typeEPT_PT0_S4_
                                        ; -- End function
	.section	.AMDGPU.csdata,"",@progbits
; Kernel info:
; codeLenInByte = 224
; NumSgprs: 14
; NumVgprs: 10
; NumAgprs: 0
; TotalNumVgprs: 10
; ScratchSize: 0
; MemoryBound: 0
; FloatMode: 240
; IeeeMode: 1
; LDSByteSize: 0 bytes/workgroup (compile time only)
; SGPRBlocks: 1
; VGPRBlocks: 1
; NumSGPRsForWavesPerEU: 14
; NumVGPRsForWavesPerEU: 10
; AccumOffset: 12
; Occupancy: 8
; WaveLimiterHint : 0
; COMPUTE_PGM_RSRC2:SCRATCH_EN: 0
; COMPUTE_PGM_RSRC2:USER_SGPR: 6
; COMPUTE_PGM_RSRC2:TRAP_HANDLER: 0
; COMPUTE_PGM_RSRC2:TGID_X_EN: 1
; COMPUTE_PGM_RSRC2:TGID_Y_EN: 0
; COMPUTE_PGM_RSRC2:TGID_Z_EN: 0
; COMPUTE_PGM_RSRC2:TIDIG_COMP_CNT: 0
; COMPUTE_PGM_RSRC3_GFX90A:ACCUM_OFFSET: 2
; COMPUTE_PGM_RSRC3_GFX90A:TG_SPLIT: 0
	.section	.text._Z33tail_segmented_warp_reduce_kernelIfhLj32ELj1EENSt9enable_ifIXsr10test_utilsE35device_test_enabled_for_warp_size_vIXT2_EEEvE4typeEPT_PT0_S4_,"axG",@progbits,_Z33tail_segmented_warp_reduce_kernelIfhLj32ELj1EENSt9enable_ifIXsr10test_utilsE35device_test_enabled_for_warp_size_vIXT2_EEEvE4typeEPT_PT0_S4_,comdat
	.protected	_Z33tail_segmented_warp_reduce_kernelIfhLj32ELj1EENSt9enable_ifIXsr10test_utilsE35device_test_enabled_for_warp_size_vIXT2_EEEvE4typeEPT_PT0_S4_ ; -- Begin function _Z33tail_segmented_warp_reduce_kernelIfhLj32ELj1EENSt9enable_ifIXsr10test_utilsE35device_test_enabled_for_warp_size_vIXT2_EEEvE4typeEPT_PT0_S4_
	.globl	_Z33tail_segmented_warp_reduce_kernelIfhLj32ELj1EENSt9enable_ifIXsr10test_utilsE35device_test_enabled_for_warp_size_vIXT2_EEEvE4typeEPT_PT0_S4_
	.p2align	8
	.type	_Z33tail_segmented_warp_reduce_kernelIfhLj32ELj1EENSt9enable_ifIXsr10test_utilsE35device_test_enabled_for_warp_size_vIXT2_EEEvE4typeEPT_PT0_S4_,@function
_Z33tail_segmented_warp_reduce_kernelIfhLj32ELj1EENSt9enable_ifIXsr10test_utilsE35device_test_enabled_for_warp_size_vIXT2_EEEvE4typeEPT_PT0_S4_: ; @_Z33tail_segmented_warp_reduce_kernelIfhLj32ELj1EENSt9enable_ifIXsr10test_utilsE35device_test_enabled_for_warp_size_vIXT2_EEEvE4typeEPT_PT0_S4_
; %bb.0:
	s_load_dword s7, s[4:5], 0x24
	s_load_dwordx2 s[0:1], s[4:5], 0x0
	s_load_dwordx2 s[2:3], s[4:5], 0x10
	v_mov_b32_e32 v1, 0
	s_waitcnt lgkmcnt(0)
	s_and_b32 s4, s7, 0xffff
	s_mul_i32 s6, s6, s4
	v_add_u32_e32 v0, s6, v0
	v_lshlrev_b64 v[0:1], 2, v[0:1]
	v_mov_b32_e32 v3, s1
	v_add_co_u32_e32 v2, vcc, s0, v0
	v_addc_co_u32_e32 v3, vcc, v3, v1, vcc
	global_load_dword v2, v[2:3], off
	v_mov_b32_e32 v3, s3
	v_add_co_u32_e32 v0, vcc, s2, v0
	v_addc_co_u32_e32 v1, vcc, v3, v1, vcc
	s_waitcnt vmcnt(0)
	global_store_dword v[0:1], v2, off
	s_endpgm
	.section	.rodata,"a",@progbits
	.p2align	6, 0x0
	.amdhsa_kernel _Z33tail_segmented_warp_reduce_kernelIfhLj32ELj1EENSt9enable_ifIXsr10test_utilsE35device_test_enabled_for_warp_size_vIXT2_EEEvE4typeEPT_PT0_S4_
		.amdhsa_group_segment_fixed_size 0
		.amdhsa_private_segment_fixed_size 0
		.amdhsa_kernarg_size 280
		.amdhsa_user_sgpr_count 6
		.amdhsa_user_sgpr_private_segment_buffer 1
		.amdhsa_user_sgpr_dispatch_ptr 0
		.amdhsa_user_sgpr_queue_ptr 0
		.amdhsa_user_sgpr_kernarg_segment_ptr 1
		.amdhsa_user_sgpr_dispatch_id 0
		.amdhsa_user_sgpr_flat_scratch_init 0
		.amdhsa_user_sgpr_kernarg_preload_length 0
		.amdhsa_user_sgpr_kernarg_preload_offset 0
		.amdhsa_user_sgpr_private_segment_size 0
		.amdhsa_uses_dynamic_stack 0
		.amdhsa_system_sgpr_private_segment_wavefront_offset 0
		.amdhsa_system_sgpr_workgroup_id_x 1
		.amdhsa_system_sgpr_workgroup_id_y 0
		.amdhsa_system_sgpr_workgroup_id_z 0
		.amdhsa_system_sgpr_workgroup_info 0
		.amdhsa_system_vgpr_workitem_id 0
		.amdhsa_next_free_vgpr 4
		.amdhsa_next_free_sgpr 8
		.amdhsa_accum_offset 4
		.amdhsa_reserve_vcc 1
		.amdhsa_reserve_flat_scratch 0
		.amdhsa_float_round_mode_32 0
		.amdhsa_float_round_mode_16_64 0
		.amdhsa_float_denorm_mode_32 3
		.amdhsa_float_denorm_mode_16_64 3
		.amdhsa_dx10_clamp 1
		.amdhsa_ieee_mode 1
		.amdhsa_fp16_overflow 0
		.amdhsa_tg_split 0
		.amdhsa_exception_fp_ieee_invalid_op 0
		.amdhsa_exception_fp_denorm_src 0
		.amdhsa_exception_fp_ieee_div_zero 0
		.amdhsa_exception_fp_ieee_overflow 0
		.amdhsa_exception_fp_ieee_underflow 0
		.amdhsa_exception_fp_ieee_inexact 0
		.amdhsa_exception_int_div_zero 0
	.end_amdhsa_kernel
	.section	.text._Z33tail_segmented_warp_reduce_kernelIfhLj32ELj1EENSt9enable_ifIXsr10test_utilsE35device_test_enabled_for_warp_size_vIXT2_EEEvE4typeEPT_PT0_S4_,"axG",@progbits,_Z33tail_segmented_warp_reduce_kernelIfhLj32ELj1EENSt9enable_ifIXsr10test_utilsE35device_test_enabled_for_warp_size_vIXT2_EEEvE4typeEPT_PT0_S4_,comdat
.Lfunc_end243:
	.size	_Z33tail_segmented_warp_reduce_kernelIfhLj32ELj1EENSt9enable_ifIXsr10test_utilsE35device_test_enabled_for_warp_size_vIXT2_EEEvE4typeEPT_PT0_S4_, .Lfunc_end243-_Z33tail_segmented_warp_reduce_kernelIfhLj32ELj1EENSt9enable_ifIXsr10test_utilsE35device_test_enabled_for_warp_size_vIXT2_EEEvE4typeEPT_PT0_S4_
                                        ; -- End function
	.section	.AMDGPU.csdata,"",@progbits
; Kernel info:
; codeLenInByte = 104
; NumSgprs: 12
; NumVgprs: 4
; NumAgprs: 0
; TotalNumVgprs: 4
; ScratchSize: 0
; MemoryBound: 0
; FloatMode: 240
; IeeeMode: 1
; LDSByteSize: 0 bytes/workgroup (compile time only)
; SGPRBlocks: 1
; VGPRBlocks: 0
; NumSGPRsForWavesPerEU: 12
; NumVGPRsForWavesPerEU: 4
; AccumOffset: 4
; Occupancy: 8
; WaveLimiterHint : 0
; COMPUTE_PGM_RSRC2:SCRATCH_EN: 0
; COMPUTE_PGM_RSRC2:USER_SGPR: 6
; COMPUTE_PGM_RSRC2:TRAP_HANDLER: 0
; COMPUTE_PGM_RSRC2:TGID_X_EN: 1
; COMPUTE_PGM_RSRC2:TGID_Y_EN: 0
; COMPUTE_PGM_RSRC2:TGID_Z_EN: 0
; COMPUTE_PGM_RSRC2:TIDIG_COMP_CNT: 0
; COMPUTE_PGM_RSRC3_GFX90A:ACCUM_OFFSET: 0
; COMPUTE_PGM_RSRC3_GFX90A:TG_SPLIT: 0
	.section	.text._Z33tail_segmented_warp_reduce_kernelIfhLj64ELj1EENSt9enable_ifIXsr10test_utilsE35device_test_enabled_for_warp_size_vIXT2_EEEvE4typeEPT_PT0_S4_,"axG",@progbits,_Z33tail_segmented_warp_reduce_kernelIfhLj64ELj1EENSt9enable_ifIXsr10test_utilsE35device_test_enabled_for_warp_size_vIXT2_EEEvE4typeEPT_PT0_S4_,comdat
	.protected	_Z33tail_segmented_warp_reduce_kernelIfhLj64ELj1EENSt9enable_ifIXsr10test_utilsE35device_test_enabled_for_warp_size_vIXT2_EEEvE4typeEPT_PT0_S4_ ; -- Begin function _Z33tail_segmented_warp_reduce_kernelIfhLj64ELj1EENSt9enable_ifIXsr10test_utilsE35device_test_enabled_for_warp_size_vIXT2_EEEvE4typeEPT_PT0_S4_
	.globl	_Z33tail_segmented_warp_reduce_kernelIfhLj64ELj1EENSt9enable_ifIXsr10test_utilsE35device_test_enabled_for_warp_size_vIXT2_EEEvE4typeEPT_PT0_S4_
	.p2align	8
	.type	_Z33tail_segmented_warp_reduce_kernelIfhLj64ELj1EENSt9enable_ifIXsr10test_utilsE35device_test_enabled_for_warp_size_vIXT2_EEEvE4typeEPT_PT0_S4_,@function
_Z33tail_segmented_warp_reduce_kernelIfhLj64ELj1EENSt9enable_ifIXsr10test_utilsE35device_test_enabled_for_warp_size_vIXT2_EEEvE4typeEPT_PT0_S4_: ; @_Z33tail_segmented_warp_reduce_kernelIfhLj64ELj1EENSt9enable_ifIXsr10test_utilsE35device_test_enabled_for_warp_size_vIXT2_EEEvE4typeEPT_PT0_S4_
; %bb.0:
	s_load_dword s7, s[4:5], 0x24
	s_load_dwordx2 s[0:1], s[4:5], 0x0
	s_load_dwordx2 s[2:3], s[4:5], 0x10
	v_mov_b32_e32 v1, 0
	s_waitcnt lgkmcnt(0)
	s_and_b32 s4, s7, 0xffff
	s_mul_i32 s6, s6, s4
	v_add_u32_e32 v0, s6, v0
	v_lshlrev_b64 v[0:1], 2, v[0:1]
	v_mov_b32_e32 v3, s1
	v_add_co_u32_e32 v2, vcc, s0, v0
	v_addc_co_u32_e32 v3, vcc, v3, v1, vcc
	global_load_dword v2, v[2:3], off
	v_mov_b32_e32 v3, s3
	v_add_co_u32_e32 v0, vcc, s2, v0
	v_addc_co_u32_e32 v1, vcc, v3, v1, vcc
	s_waitcnt vmcnt(0)
	global_store_dword v[0:1], v2, off
	s_endpgm
	.section	.rodata,"a",@progbits
	.p2align	6, 0x0
	.amdhsa_kernel _Z33tail_segmented_warp_reduce_kernelIfhLj64ELj1EENSt9enable_ifIXsr10test_utilsE35device_test_enabled_for_warp_size_vIXT2_EEEvE4typeEPT_PT0_S4_
		.amdhsa_group_segment_fixed_size 0
		.amdhsa_private_segment_fixed_size 0
		.amdhsa_kernarg_size 280
		.amdhsa_user_sgpr_count 6
		.amdhsa_user_sgpr_private_segment_buffer 1
		.amdhsa_user_sgpr_dispatch_ptr 0
		.amdhsa_user_sgpr_queue_ptr 0
		.amdhsa_user_sgpr_kernarg_segment_ptr 1
		.amdhsa_user_sgpr_dispatch_id 0
		.amdhsa_user_sgpr_flat_scratch_init 0
		.amdhsa_user_sgpr_kernarg_preload_length 0
		.amdhsa_user_sgpr_kernarg_preload_offset 0
		.amdhsa_user_sgpr_private_segment_size 0
		.amdhsa_uses_dynamic_stack 0
		.amdhsa_system_sgpr_private_segment_wavefront_offset 0
		.amdhsa_system_sgpr_workgroup_id_x 1
		.amdhsa_system_sgpr_workgroup_id_y 0
		.amdhsa_system_sgpr_workgroup_id_z 0
		.amdhsa_system_sgpr_workgroup_info 0
		.amdhsa_system_vgpr_workitem_id 0
		.amdhsa_next_free_vgpr 4
		.amdhsa_next_free_sgpr 8
		.amdhsa_accum_offset 4
		.amdhsa_reserve_vcc 1
		.amdhsa_reserve_flat_scratch 0
		.amdhsa_float_round_mode_32 0
		.amdhsa_float_round_mode_16_64 0
		.amdhsa_float_denorm_mode_32 3
		.amdhsa_float_denorm_mode_16_64 3
		.amdhsa_dx10_clamp 1
		.amdhsa_ieee_mode 1
		.amdhsa_fp16_overflow 0
		.amdhsa_tg_split 0
		.amdhsa_exception_fp_ieee_invalid_op 0
		.amdhsa_exception_fp_denorm_src 0
		.amdhsa_exception_fp_ieee_div_zero 0
		.amdhsa_exception_fp_ieee_overflow 0
		.amdhsa_exception_fp_ieee_underflow 0
		.amdhsa_exception_fp_ieee_inexact 0
		.amdhsa_exception_int_div_zero 0
	.end_amdhsa_kernel
	.section	.text._Z33tail_segmented_warp_reduce_kernelIfhLj64ELj1EENSt9enable_ifIXsr10test_utilsE35device_test_enabled_for_warp_size_vIXT2_EEEvE4typeEPT_PT0_S4_,"axG",@progbits,_Z33tail_segmented_warp_reduce_kernelIfhLj64ELj1EENSt9enable_ifIXsr10test_utilsE35device_test_enabled_for_warp_size_vIXT2_EEEvE4typeEPT_PT0_S4_,comdat
.Lfunc_end244:
	.size	_Z33tail_segmented_warp_reduce_kernelIfhLj64ELj1EENSt9enable_ifIXsr10test_utilsE35device_test_enabled_for_warp_size_vIXT2_EEEvE4typeEPT_PT0_S4_, .Lfunc_end244-_Z33tail_segmented_warp_reduce_kernelIfhLj64ELj1EENSt9enable_ifIXsr10test_utilsE35device_test_enabled_for_warp_size_vIXT2_EEEvE4typeEPT_PT0_S4_
                                        ; -- End function
	.section	.AMDGPU.csdata,"",@progbits
; Kernel info:
; codeLenInByte = 104
; NumSgprs: 12
; NumVgprs: 4
; NumAgprs: 0
; TotalNumVgprs: 4
; ScratchSize: 0
; MemoryBound: 0
; FloatMode: 240
; IeeeMode: 1
; LDSByteSize: 0 bytes/workgroup (compile time only)
; SGPRBlocks: 1
; VGPRBlocks: 0
; NumSGPRsForWavesPerEU: 12
; NumVGPRsForWavesPerEU: 4
; AccumOffset: 4
; Occupancy: 8
; WaveLimiterHint : 0
; COMPUTE_PGM_RSRC2:SCRATCH_EN: 0
; COMPUTE_PGM_RSRC2:USER_SGPR: 6
; COMPUTE_PGM_RSRC2:TRAP_HANDLER: 0
; COMPUTE_PGM_RSRC2:TGID_X_EN: 1
; COMPUTE_PGM_RSRC2:TGID_Y_EN: 0
; COMPUTE_PGM_RSRC2:TGID_Z_EN: 0
; COMPUTE_PGM_RSRC2:TIDIG_COMP_CNT: 0
; COMPUTE_PGM_RSRC3_GFX90A:ACCUM_OFFSET: 0
; COMPUTE_PGM_RSRC3_GFX90A:TG_SPLIT: 0
	.section	.text._Z33tail_segmented_warp_reduce_kernelIihLj256ELj64EENSt9enable_ifIXsr10test_utilsE35device_test_enabled_for_warp_size_vIXT2_EEEvE4typeEPT_PT0_S4_,"axG",@progbits,_Z33tail_segmented_warp_reduce_kernelIihLj256ELj64EENSt9enable_ifIXsr10test_utilsE35device_test_enabled_for_warp_size_vIXT2_EEEvE4typeEPT_PT0_S4_,comdat
	.protected	_Z33tail_segmented_warp_reduce_kernelIihLj256ELj64EENSt9enable_ifIXsr10test_utilsE35device_test_enabled_for_warp_size_vIXT2_EEEvE4typeEPT_PT0_S4_ ; -- Begin function _Z33tail_segmented_warp_reduce_kernelIihLj256ELj64EENSt9enable_ifIXsr10test_utilsE35device_test_enabled_for_warp_size_vIXT2_EEEvE4typeEPT_PT0_S4_
	.globl	_Z33tail_segmented_warp_reduce_kernelIihLj256ELj64EENSt9enable_ifIXsr10test_utilsE35device_test_enabled_for_warp_size_vIXT2_EEEvE4typeEPT_PT0_S4_
	.p2align	8
	.type	_Z33tail_segmented_warp_reduce_kernelIihLj256ELj64EENSt9enable_ifIXsr10test_utilsE35device_test_enabled_for_warp_size_vIXT2_EEEvE4typeEPT_PT0_S4_,@function
_Z33tail_segmented_warp_reduce_kernelIihLj256ELj64EENSt9enable_ifIXsr10test_utilsE35device_test_enabled_for_warp_size_vIXT2_EEEvE4typeEPT_PT0_S4_: ; @_Z33tail_segmented_warp_reduce_kernelIihLj256ELj64EENSt9enable_ifIXsr10test_utilsE35device_test_enabled_for_warp_size_vIXT2_EEEvE4typeEPT_PT0_S4_
; %bb.0:
	s_load_dword s2, s[4:5], 0x24
	s_load_dwordx4 s[8:11], s[4:5], 0x0
	s_load_dwordx2 s[0:1], s[4:5], 0x10
	v_mov_b32_e32 v1, 0
	s_waitcnt lgkmcnt(0)
	s_and_b32 s2, s2, 0xffff
	s_mul_i32 s6, s6, s2
	v_add_u32_e32 v0, s6, v0
	v_lshlrev_b64 v[2:3], 2, v[0:1]
	v_mov_b32_e32 v1, s9
	global_load_ubyte v4, v0, s[10:11]
	v_add_co_u32_e32 v0, vcc, s8, v2
	v_addc_co_u32_e32 v1, vcc, v1, v3, vcc
	global_load_dword v5, v[0:1], off
	v_mbcnt_lo_u32_b32 v0, -1, 0
	v_mbcnt_hi_u32_b32 v6, -1, v0
	v_and_b32_e32 v7, 63, v6
	v_cmp_ne_u32_e32 vcc, 63, v7
	v_addc_co_u32_e32 v13, vcc, 0, v6, vcc
	v_cmp_gt_u32_e32 vcc, 62, v7
	v_lshlrev_b64 v[0:1], v6, -1
	v_cndmask_b32_e64 v14, 0, 1, vcc
	v_lshlrev_b32_e32 v13, 2, v13
	v_add_u32_e32 v8, 1, v6
	v_lshlrev_b32_e32 v14, 1, v14
	v_add_lshl_u32 v14, v14, v6, 2
	v_add_u32_e32 v9, 2, v6
	v_add_u32_e32 v10, 4, v6
	;; [unrolled: 1-line block ×4, first 2 shown]
	s_waitcnt vmcnt(1)
	v_cmp_ne_u16_e32 vcc, 0, v4
	v_and_b32_e32 v1, vcc_hi, v1
	v_or_b32_e32 v1, 0x80000000, v1
	v_and_b32_e32 v0, vcc_lo, v0
	v_ffbl_b32_e32 v1, v1
	s_waitcnt vmcnt(0)
	ds_bpermute_b32 v4, v13, v5
	v_ffbl_b32_e32 v0, v0
	v_add_u32_e32 v1, 32, v1
	v_min_u32_e32 v0, v0, v1
	v_cmp_le_u32_e32 vcc, v8, v0
	s_waitcnt lgkmcnt(0)
	v_cndmask_b32_e32 v1, 0, v4, vcc
	v_add_u32_e32 v1, v1, v5
	ds_bpermute_b32 v4, v14, v1
	v_cmp_gt_u32_e32 vcc, 60, v7
	v_cndmask_b32_e64 v5, 0, 1, vcc
	v_cmp_le_u32_e32 vcc, v9, v0
	v_lshlrev_b32_e32 v5, 2, v5
	s_waitcnt lgkmcnt(0)
	v_cndmask_b32_e32 v4, 0, v4, vcc
	v_add_lshl_u32 v5, v5, v6, 2
	v_add_u32_e32 v1, v1, v4
	ds_bpermute_b32 v4, v5, v1
	v_cmp_gt_u32_e32 vcc, 56, v7
	v_cndmask_b32_e64 v5, 0, 1, vcc
	v_cmp_le_u32_e32 vcc, v10, v0
	v_lshlrev_b32_e32 v5, 3, v5
	s_waitcnt lgkmcnt(0)
	v_cndmask_b32_e32 v4, 0, v4, vcc
	v_add_lshl_u32 v5, v5, v6, 2
	;; [unrolled: 9-line block ×4, first 2 shown]
	v_add_u32_e32 v1, v1, v4
	ds_bpermute_b32 v4, v5, v1
	v_add_u32_e32 v5, 32, v6
	v_cmp_le_u32_e32 vcc, v5, v0
	v_mov_b32_e32 v6, s1
	s_waitcnt lgkmcnt(0)
	v_cndmask_b32_e32 v0, 0, v4, vcc
	v_add_u32_e32 v4, v1, v0
	v_add_co_u32_e32 v0, vcc, s0, v2
	v_addc_co_u32_e32 v1, vcc, v6, v3, vcc
	global_store_dword v[0:1], v4, off
	s_endpgm
	.section	.rodata,"a",@progbits
	.p2align	6, 0x0
	.amdhsa_kernel _Z33tail_segmented_warp_reduce_kernelIihLj256ELj64EENSt9enable_ifIXsr10test_utilsE35device_test_enabled_for_warp_size_vIXT2_EEEvE4typeEPT_PT0_S4_
		.amdhsa_group_segment_fixed_size 0
		.amdhsa_private_segment_fixed_size 0
		.amdhsa_kernarg_size 280
		.amdhsa_user_sgpr_count 6
		.amdhsa_user_sgpr_private_segment_buffer 1
		.amdhsa_user_sgpr_dispatch_ptr 0
		.amdhsa_user_sgpr_queue_ptr 0
		.amdhsa_user_sgpr_kernarg_segment_ptr 1
		.amdhsa_user_sgpr_dispatch_id 0
		.amdhsa_user_sgpr_flat_scratch_init 0
		.amdhsa_user_sgpr_kernarg_preload_length 0
		.amdhsa_user_sgpr_kernarg_preload_offset 0
		.amdhsa_user_sgpr_private_segment_size 0
		.amdhsa_uses_dynamic_stack 0
		.amdhsa_system_sgpr_private_segment_wavefront_offset 0
		.amdhsa_system_sgpr_workgroup_id_x 1
		.amdhsa_system_sgpr_workgroup_id_y 0
		.amdhsa_system_sgpr_workgroup_id_z 0
		.amdhsa_system_sgpr_workgroup_info 0
		.amdhsa_system_vgpr_workitem_id 0
		.amdhsa_next_free_vgpr 15
		.amdhsa_next_free_sgpr 12
		.amdhsa_accum_offset 16
		.amdhsa_reserve_vcc 1
		.amdhsa_reserve_flat_scratch 0
		.amdhsa_float_round_mode_32 0
		.amdhsa_float_round_mode_16_64 0
		.amdhsa_float_denorm_mode_32 3
		.amdhsa_float_denorm_mode_16_64 3
		.amdhsa_dx10_clamp 1
		.amdhsa_ieee_mode 1
		.amdhsa_fp16_overflow 0
		.amdhsa_tg_split 0
		.amdhsa_exception_fp_ieee_invalid_op 0
		.amdhsa_exception_fp_denorm_src 0
		.amdhsa_exception_fp_ieee_div_zero 0
		.amdhsa_exception_fp_ieee_overflow 0
		.amdhsa_exception_fp_ieee_underflow 0
		.amdhsa_exception_fp_ieee_inexact 0
		.amdhsa_exception_int_div_zero 0
	.end_amdhsa_kernel
	.section	.text._Z33tail_segmented_warp_reduce_kernelIihLj256ELj64EENSt9enable_ifIXsr10test_utilsE35device_test_enabled_for_warp_size_vIXT2_EEEvE4typeEPT_PT0_S4_,"axG",@progbits,_Z33tail_segmented_warp_reduce_kernelIihLj256ELj64EENSt9enable_ifIXsr10test_utilsE35device_test_enabled_for_warp_size_vIXT2_EEEvE4typeEPT_PT0_S4_,comdat
.Lfunc_end245:
	.size	_Z33tail_segmented_warp_reduce_kernelIihLj256ELj64EENSt9enable_ifIXsr10test_utilsE35device_test_enabled_for_warp_size_vIXT2_EEEvE4typeEPT_PT0_S4_, .Lfunc_end245-_Z33tail_segmented_warp_reduce_kernelIihLj256ELj64EENSt9enable_ifIXsr10test_utilsE35device_test_enabled_for_warp_size_vIXT2_EEEvE4typeEPT_PT0_S4_
                                        ; -- End function
	.section	.AMDGPU.csdata,"",@progbits
; Kernel info:
; codeLenInByte = 480
; NumSgprs: 16
; NumVgprs: 15
; NumAgprs: 0
; TotalNumVgprs: 15
; ScratchSize: 0
; MemoryBound: 0
; FloatMode: 240
; IeeeMode: 1
; LDSByteSize: 0 bytes/workgroup (compile time only)
; SGPRBlocks: 1
; VGPRBlocks: 1
; NumSGPRsForWavesPerEU: 16
; NumVGPRsForWavesPerEU: 15
; AccumOffset: 16
; Occupancy: 8
; WaveLimiterHint : 0
; COMPUTE_PGM_RSRC2:SCRATCH_EN: 0
; COMPUTE_PGM_RSRC2:USER_SGPR: 6
; COMPUTE_PGM_RSRC2:TRAP_HANDLER: 0
; COMPUTE_PGM_RSRC2:TGID_X_EN: 1
; COMPUTE_PGM_RSRC2:TGID_Y_EN: 0
; COMPUTE_PGM_RSRC2:TGID_Z_EN: 0
; COMPUTE_PGM_RSRC2:TIDIG_COMP_CNT: 0
; COMPUTE_PGM_RSRC3_GFX90A:ACCUM_OFFSET: 3
; COMPUTE_PGM_RSRC3_GFX90A:TG_SPLIT: 0
	.section	.text._Z33tail_segmented_warp_reduce_kernelIihLj128ELj32EENSt9enable_ifIXsr10test_utilsE35device_test_enabled_for_warp_size_vIXT2_EEEvE4typeEPT_PT0_S4_,"axG",@progbits,_Z33tail_segmented_warp_reduce_kernelIihLj128ELj32EENSt9enable_ifIXsr10test_utilsE35device_test_enabled_for_warp_size_vIXT2_EEEvE4typeEPT_PT0_S4_,comdat
	.protected	_Z33tail_segmented_warp_reduce_kernelIihLj128ELj32EENSt9enable_ifIXsr10test_utilsE35device_test_enabled_for_warp_size_vIXT2_EEEvE4typeEPT_PT0_S4_ ; -- Begin function _Z33tail_segmented_warp_reduce_kernelIihLj128ELj32EENSt9enable_ifIXsr10test_utilsE35device_test_enabled_for_warp_size_vIXT2_EEEvE4typeEPT_PT0_S4_
	.globl	_Z33tail_segmented_warp_reduce_kernelIihLj128ELj32EENSt9enable_ifIXsr10test_utilsE35device_test_enabled_for_warp_size_vIXT2_EEEvE4typeEPT_PT0_S4_
	.p2align	8
	.type	_Z33tail_segmented_warp_reduce_kernelIihLj128ELj32EENSt9enable_ifIXsr10test_utilsE35device_test_enabled_for_warp_size_vIXT2_EEEvE4typeEPT_PT0_S4_,@function
_Z33tail_segmented_warp_reduce_kernelIihLj128ELj32EENSt9enable_ifIXsr10test_utilsE35device_test_enabled_for_warp_size_vIXT2_EEEvE4typeEPT_PT0_S4_: ; @_Z33tail_segmented_warp_reduce_kernelIihLj128ELj32EENSt9enable_ifIXsr10test_utilsE35device_test_enabled_for_warp_size_vIXT2_EEEvE4typeEPT_PT0_S4_
; %bb.0:
	s_load_dword s2, s[4:5], 0x24
	s_load_dwordx4 s[8:11], s[4:5], 0x0
	s_load_dwordx2 s[0:1], s[4:5], 0x10
	v_mov_b32_e32 v1, 0
	s_waitcnt lgkmcnt(0)
	s_and_b32 s2, s2, 0xffff
	s_mul_i32 s6, s6, s2
	v_add_u32_e32 v0, s6, v0
	v_lshlrev_b64 v[2:3], 2, v[0:1]
	v_mov_b32_e32 v1, s9
	global_load_ubyte v4, v0, s[10:11]
	v_add_co_u32_e32 v0, vcc, s8, v2
	v_addc_co_u32_e32 v1, vcc, v1, v3, vcc
	global_load_dword v5, v[0:1], off
	v_mbcnt_lo_u32_b32 v0, -1, 0
	v_mbcnt_hi_u32_b32 v6, -1, v0
	v_and_b32_e32 v8, 31, v6
	v_cmp_ne_u32_e32 vcc, 31, v8
	v_addc_co_u32_e32 v9, vcc, 0, v6, vcc
	v_cmp_gt_u32_e32 vcc, 30, v8
	v_cndmask_b32_e64 v11, 0, 1, vcc
	v_cmp_gt_u32_e32 vcc, 28, v8
	v_lshlrev_b64 v[0:1], v6, -1
	v_cndmask_b32_e64 v13, 0, 1, vcc
	v_and_b32_e32 v7, 0x60, v6
	v_lshlrev_b32_e32 v9, 2, v9
	v_lshlrev_b32_e32 v11, 1, v11
	v_add_lshl_u32 v11, v11, v6, 2
	v_add_u32_e32 v10, 2, v8
	v_add_u32_e32 v12, 4, v8
	s_waitcnt vmcnt(1)
	v_cmp_ne_u16_e32 vcc, 0, v4
	v_and_b32_e32 v1, vcc_hi, v1
	v_and_b32_e32 v0, vcc_lo, v0
	v_lshrrev_b64 v[0:1], v7, v[0:1]
	v_or_b32_e32 v0, 0x80000000, v0
	s_waitcnt vmcnt(0)
	ds_bpermute_b32 v4, v9, v5
	v_ffbl_b32_e32 v1, v1
	v_add_u32_e32 v1, 32, v1
	v_ffbl_b32_e32 v0, v0
	v_min_u32_e32 v0, v0, v1
	v_cmp_lt_u32_e32 vcc, v8, v0
	s_waitcnt lgkmcnt(0)
	v_cndmask_b32_e32 v1, 0, v4, vcc
	v_add_u32_e32 v1, v1, v5
	ds_bpermute_b32 v4, v11, v1
	v_cmp_le_u32_e32 vcc, v10, v0
	v_lshlrev_b32_e32 v7, 2, v13
	v_add_lshl_u32 v7, v7, v6, 2
	v_add_u32_e32 v5, 8, v8
	s_waitcnt lgkmcnt(0)
	v_cndmask_b32_e32 v4, 0, v4, vcc
	v_add_u32_e32 v1, v1, v4
	ds_bpermute_b32 v4, v7, v1
	v_cmp_gt_u32_e32 vcc, 24, v8
	v_cndmask_b32_e64 v7, 0, 1, vcc
	v_cmp_le_u32_e32 vcc, v12, v0
	v_lshlrev_b32_e32 v7, 3, v7
	s_waitcnt lgkmcnt(0)
	v_cndmask_b32_e32 v4, 0, v4, vcc
	v_add_lshl_u32 v7, v7, v6, 2
	v_add_u32_e32 v1, v1, v4
	ds_bpermute_b32 v4, v7, v1
	v_cmp_gt_u32_e32 vcc, 16, v8
	v_cndmask_b32_e64 v7, 0, 1, vcc
	v_cmp_le_u32_e32 vcc, v5, v0
	v_lshlrev_b32_e32 v7, 4, v7
	s_waitcnt lgkmcnt(0)
	v_cndmask_b32_e32 v4, 0, v4, vcc
	v_add_lshl_u32 v6, v7, v6, 2
	v_add_u32_e32 v1, v1, v4
	ds_bpermute_b32 v4, v6, v1
	v_add_u32_e32 v5, 16, v8
	v_cmp_le_u32_e32 vcc, v5, v0
	v_mov_b32_e32 v6, s1
	s_waitcnt lgkmcnt(0)
	v_cndmask_b32_e32 v0, 0, v4, vcc
	v_add_u32_e32 v4, v1, v0
	v_add_co_u32_e32 v0, vcc, s0, v2
	v_addc_co_u32_e32 v1, vcc, v6, v3, vcc
	global_store_dword v[0:1], v4, off
	s_endpgm
	.section	.rodata,"a",@progbits
	.p2align	6, 0x0
	.amdhsa_kernel _Z33tail_segmented_warp_reduce_kernelIihLj128ELj32EENSt9enable_ifIXsr10test_utilsE35device_test_enabled_for_warp_size_vIXT2_EEEvE4typeEPT_PT0_S4_
		.amdhsa_group_segment_fixed_size 0
		.amdhsa_private_segment_fixed_size 0
		.amdhsa_kernarg_size 280
		.amdhsa_user_sgpr_count 6
		.amdhsa_user_sgpr_private_segment_buffer 1
		.amdhsa_user_sgpr_dispatch_ptr 0
		.amdhsa_user_sgpr_queue_ptr 0
		.amdhsa_user_sgpr_kernarg_segment_ptr 1
		.amdhsa_user_sgpr_dispatch_id 0
		.amdhsa_user_sgpr_flat_scratch_init 0
		.amdhsa_user_sgpr_kernarg_preload_length 0
		.amdhsa_user_sgpr_kernarg_preload_offset 0
		.amdhsa_user_sgpr_private_segment_size 0
		.amdhsa_uses_dynamic_stack 0
		.amdhsa_system_sgpr_private_segment_wavefront_offset 0
		.amdhsa_system_sgpr_workgroup_id_x 1
		.amdhsa_system_sgpr_workgroup_id_y 0
		.amdhsa_system_sgpr_workgroup_id_z 0
		.amdhsa_system_sgpr_workgroup_info 0
		.amdhsa_system_vgpr_workitem_id 0
		.amdhsa_next_free_vgpr 14
		.amdhsa_next_free_sgpr 12
		.amdhsa_accum_offset 16
		.amdhsa_reserve_vcc 1
		.amdhsa_reserve_flat_scratch 0
		.amdhsa_float_round_mode_32 0
		.amdhsa_float_round_mode_16_64 0
		.amdhsa_float_denorm_mode_32 3
		.amdhsa_float_denorm_mode_16_64 3
		.amdhsa_dx10_clamp 1
		.amdhsa_ieee_mode 1
		.amdhsa_fp16_overflow 0
		.amdhsa_tg_split 0
		.amdhsa_exception_fp_ieee_invalid_op 0
		.amdhsa_exception_fp_denorm_src 0
		.amdhsa_exception_fp_ieee_div_zero 0
		.amdhsa_exception_fp_ieee_overflow 0
		.amdhsa_exception_fp_ieee_underflow 0
		.amdhsa_exception_fp_ieee_inexact 0
		.amdhsa_exception_int_div_zero 0
	.end_amdhsa_kernel
	.section	.text._Z33tail_segmented_warp_reduce_kernelIihLj128ELj32EENSt9enable_ifIXsr10test_utilsE35device_test_enabled_for_warp_size_vIXT2_EEEvE4typeEPT_PT0_S4_,"axG",@progbits,_Z33tail_segmented_warp_reduce_kernelIihLj128ELj32EENSt9enable_ifIXsr10test_utilsE35device_test_enabled_for_warp_size_vIXT2_EEEvE4typeEPT_PT0_S4_,comdat
.Lfunc_end246:
	.size	_Z33tail_segmented_warp_reduce_kernelIihLj128ELj32EENSt9enable_ifIXsr10test_utilsE35device_test_enabled_for_warp_size_vIXT2_EEEvE4typeEPT_PT0_S4_, .Lfunc_end246-_Z33tail_segmented_warp_reduce_kernelIihLj128ELj32EENSt9enable_ifIXsr10test_utilsE35device_test_enabled_for_warp_size_vIXT2_EEEvE4typeEPT_PT0_S4_
                                        ; -- End function
	.section	.AMDGPU.csdata,"",@progbits
; Kernel info:
; codeLenInByte = 440
; NumSgprs: 16
; NumVgprs: 14
; NumAgprs: 0
; TotalNumVgprs: 14
; ScratchSize: 0
; MemoryBound: 0
; FloatMode: 240
; IeeeMode: 1
; LDSByteSize: 0 bytes/workgroup (compile time only)
; SGPRBlocks: 1
; VGPRBlocks: 1
; NumSGPRsForWavesPerEU: 16
; NumVGPRsForWavesPerEU: 14
; AccumOffset: 16
; Occupancy: 8
; WaveLimiterHint : 0
; COMPUTE_PGM_RSRC2:SCRATCH_EN: 0
; COMPUTE_PGM_RSRC2:USER_SGPR: 6
; COMPUTE_PGM_RSRC2:TRAP_HANDLER: 0
; COMPUTE_PGM_RSRC2:TGID_X_EN: 1
; COMPUTE_PGM_RSRC2:TGID_Y_EN: 0
; COMPUTE_PGM_RSRC2:TGID_Z_EN: 0
; COMPUTE_PGM_RSRC2:TIDIG_COMP_CNT: 0
; COMPUTE_PGM_RSRC3_GFX90A:ACCUM_OFFSET: 3
; COMPUTE_PGM_RSRC3_GFX90A:TG_SPLIT: 0
	.section	.text._Z33tail_segmented_warp_reduce_kernelIihLj64ELj16EENSt9enable_ifIXsr10test_utilsE35device_test_enabled_for_warp_size_vIXT2_EEEvE4typeEPT_PT0_S4_,"axG",@progbits,_Z33tail_segmented_warp_reduce_kernelIihLj64ELj16EENSt9enable_ifIXsr10test_utilsE35device_test_enabled_for_warp_size_vIXT2_EEEvE4typeEPT_PT0_S4_,comdat
	.protected	_Z33tail_segmented_warp_reduce_kernelIihLj64ELj16EENSt9enable_ifIXsr10test_utilsE35device_test_enabled_for_warp_size_vIXT2_EEEvE4typeEPT_PT0_S4_ ; -- Begin function _Z33tail_segmented_warp_reduce_kernelIihLj64ELj16EENSt9enable_ifIXsr10test_utilsE35device_test_enabled_for_warp_size_vIXT2_EEEvE4typeEPT_PT0_S4_
	.globl	_Z33tail_segmented_warp_reduce_kernelIihLj64ELj16EENSt9enable_ifIXsr10test_utilsE35device_test_enabled_for_warp_size_vIXT2_EEEvE4typeEPT_PT0_S4_
	.p2align	8
	.type	_Z33tail_segmented_warp_reduce_kernelIihLj64ELj16EENSt9enable_ifIXsr10test_utilsE35device_test_enabled_for_warp_size_vIXT2_EEEvE4typeEPT_PT0_S4_,@function
_Z33tail_segmented_warp_reduce_kernelIihLj64ELj16EENSt9enable_ifIXsr10test_utilsE35device_test_enabled_for_warp_size_vIXT2_EEEvE4typeEPT_PT0_S4_: ; @_Z33tail_segmented_warp_reduce_kernelIihLj64ELj16EENSt9enable_ifIXsr10test_utilsE35device_test_enabled_for_warp_size_vIXT2_EEEvE4typeEPT_PT0_S4_
; %bb.0:
	s_load_dword s2, s[4:5], 0x24
	s_load_dwordx4 s[8:11], s[4:5], 0x0
	s_load_dwordx2 s[0:1], s[4:5], 0x10
	v_mov_b32_e32 v1, 0
	s_waitcnt lgkmcnt(0)
	s_and_b32 s2, s2, 0xffff
	s_mul_i32 s6, s6, s2
	v_add_u32_e32 v0, s6, v0
	v_lshlrev_b64 v[2:3], 2, v[0:1]
	v_mov_b32_e32 v1, s9
	global_load_ubyte v4, v0, s[10:11]
	v_add_co_u32_e32 v0, vcc, s8, v2
	v_addc_co_u32_e32 v1, vcc, v1, v3, vcc
	global_load_dword v5, v[0:1], off
	v_mbcnt_lo_u32_b32 v0, -1, 0
	v_mbcnt_hi_u32_b32 v6, -1, v0
	v_and_b32_e32 v8, 15, v6
	v_cmp_ne_u32_e32 vcc, 15, v8
	v_addc_co_u32_e32 v9, vcc, 0, v6, vcc
	v_cmp_gt_u32_e32 vcc, 14, v8
	v_lshlrev_b64 v[0:1], v6, -1
	v_cndmask_b32_e64 v11, 0, 1, vcc
	v_and_b32_e32 v7, 0x70, v6
	v_lshlrev_b32_e32 v9, 2, v9
	v_lshlrev_b32_e32 v11, 1, v11
	v_add_lshl_u32 v11, v11, v6, 2
	v_add_u32_e32 v10, 2, v8
	v_add_u32_e32 v12, 4, v8
	s_waitcnt vmcnt(1)
	v_cmp_ne_u16_e32 vcc, 0, v4
	v_and_b32_e32 v1, vcc_hi, v1
	v_and_b32_e32 v0, vcc_lo, v0
	v_lshrrev_b64 v[0:1], v7, v[0:1]
	v_or_b32_e32 v0, 0x8000, v0
	s_waitcnt vmcnt(0)
	ds_bpermute_b32 v4, v9, v5
	v_ffbl_b32_e32 v1, v1
	v_add_u32_e32 v1, 32, v1
	v_ffbl_b32_e32 v0, v0
	v_min_u32_e32 v0, v0, v1
	v_cmp_lt_u32_e32 vcc, v8, v0
	s_waitcnt lgkmcnt(0)
	v_cndmask_b32_e32 v1, 0, v4, vcc
	v_add_u32_e32 v1, v1, v5
	ds_bpermute_b32 v4, v11, v1
	v_cmp_gt_u32_e32 vcc, 12, v8
	v_cndmask_b32_e64 v5, 0, 1, vcc
	v_cmp_le_u32_e32 vcc, v10, v0
	v_lshlrev_b32_e32 v5, 2, v5
	s_waitcnt lgkmcnt(0)
	v_cndmask_b32_e32 v4, 0, v4, vcc
	v_add_lshl_u32 v5, v5, v6, 2
	v_add_u32_e32 v1, v1, v4
	ds_bpermute_b32 v4, v5, v1
	v_cmp_gt_u32_e32 vcc, 8, v8
	v_cndmask_b32_e64 v5, 0, 1, vcc
	v_cmp_le_u32_e32 vcc, v12, v0
	v_lshlrev_b32_e32 v5, 3, v5
	s_waitcnt lgkmcnt(0)
	v_cndmask_b32_e32 v4, 0, v4, vcc
	v_add_lshl_u32 v5, v5, v6, 2
	v_add_u32_e32 v1, v1, v4
	ds_bpermute_b32 v4, v5, v1
	v_add_u32_e32 v5, 8, v8
	v_cmp_le_u32_e32 vcc, v5, v0
	v_mov_b32_e32 v6, s1
	s_waitcnt lgkmcnt(0)
	v_cndmask_b32_e32 v0, 0, v4, vcc
	v_add_u32_e32 v4, v1, v0
	v_add_co_u32_e32 v0, vcc, s0, v2
	v_addc_co_u32_e32 v1, vcc, v6, v3, vcc
	global_store_dword v[0:1], v4, off
	s_endpgm
	.section	.rodata,"a",@progbits
	.p2align	6, 0x0
	.amdhsa_kernel _Z33tail_segmented_warp_reduce_kernelIihLj64ELj16EENSt9enable_ifIXsr10test_utilsE35device_test_enabled_for_warp_size_vIXT2_EEEvE4typeEPT_PT0_S4_
		.amdhsa_group_segment_fixed_size 0
		.amdhsa_private_segment_fixed_size 0
		.amdhsa_kernarg_size 280
		.amdhsa_user_sgpr_count 6
		.amdhsa_user_sgpr_private_segment_buffer 1
		.amdhsa_user_sgpr_dispatch_ptr 0
		.amdhsa_user_sgpr_queue_ptr 0
		.amdhsa_user_sgpr_kernarg_segment_ptr 1
		.amdhsa_user_sgpr_dispatch_id 0
		.amdhsa_user_sgpr_flat_scratch_init 0
		.amdhsa_user_sgpr_kernarg_preload_length 0
		.amdhsa_user_sgpr_kernarg_preload_offset 0
		.amdhsa_user_sgpr_private_segment_size 0
		.amdhsa_uses_dynamic_stack 0
		.amdhsa_system_sgpr_private_segment_wavefront_offset 0
		.amdhsa_system_sgpr_workgroup_id_x 1
		.amdhsa_system_sgpr_workgroup_id_y 0
		.amdhsa_system_sgpr_workgroup_id_z 0
		.amdhsa_system_sgpr_workgroup_info 0
		.amdhsa_system_vgpr_workitem_id 0
		.amdhsa_next_free_vgpr 13
		.amdhsa_next_free_sgpr 12
		.amdhsa_accum_offset 16
		.amdhsa_reserve_vcc 1
		.amdhsa_reserve_flat_scratch 0
		.amdhsa_float_round_mode_32 0
		.amdhsa_float_round_mode_16_64 0
		.amdhsa_float_denorm_mode_32 3
		.amdhsa_float_denorm_mode_16_64 3
		.amdhsa_dx10_clamp 1
		.amdhsa_ieee_mode 1
		.amdhsa_fp16_overflow 0
		.amdhsa_tg_split 0
		.amdhsa_exception_fp_ieee_invalid_op 0
		.amdhsa_exception_fp_denorm_src 0
		.amdhsa_exception_fp_ieee_div_zero 0
		.amdhsa_exception_fp_ieee_overflow 0
		.amdhsa_exception_fp_ieee_underflow 0
		.amdhsa_exception_fp_ieee_inexact 0
		.amdhsa_exception_int_div_zero 0
	.end_amdhsa_kernel
	.section	.text._Z33tail_segmented_warp_reduce_kernelIihLj64ELj16EENSt9enable_ifIXsr10test_utilsE35device_test_enabled_for_warp_size_vIXT2_EEEvE4typeEPT_PT0_S4_,"axG",@progbits,_Z33tail_segmented_warp_reduce_kernelIihLj64ELj16EENSt9enable_ifIXsr10test_utilsE35device_test_enabled_for_warp_size_vIXT2_EEEvE4typeEPT_PT0_S4_,comdat
.Lfunc_end247:
	.size	_Z33tail_segmented_warp_reduce_kernelIihLj64ELj16EENSt9enable_ifIXsr10test_utilsE35device_test_enabled_for_warp_size_vIXT2_EEEvE4typeEPT_PT0_S4_, .Lfunc_end247-_Z33tail_segmented_warp_reduce_kernelIihLj64ELj16EENSt9enable_ifIXsr10test_utilsE35device_test_enabled_for_warp_size_vIXT2_EEEvE4typeEPT_PT0_S4_
                                        ; -- End function
	.section	.AMDGPU.csdata,"",@progbits
; Kernel info:
; codeLenInByte = 388
; NumSgprs: 16
; NumVgprs: 13
; NumAgprs: 0
; TotalNumVgprs: 13
; ScratchSize: 0
; MemoryBound: 0
; FloatMode: 240
; IeeeMode: 1
; LDSByteSize: 0 bytes/workgroup (compile time only)
; SGPRBlocks: 1
; VGPRBlocks: 1
; NumSGPRsForWavesPerEU: 16
; NumVGPRsForWavesPerEU: 13
; AccumOffset: 16
; Occupancy: 8
; WaveLimiterHint : 0
; COMPUTE_PGM_RSRC2:SCRATCH_EN: 0
; COMPUTE_PGM_RSRC2:USER_SGPR: 6
; COMPUTE_PGM_RSRC2:TRAP_HANDLER: 0
; COMPUTE_PGM_RSRC2:TGID_X_EN: 1
; COMPUTE_PGM_RSRC2:TGID_Y_EN: 0
; COMPUTE_PGM_RSRC2:TGID_Z_EN: 0
; COMPUTE_PGM_RSRC2:TIDIG_COMP_CNT: 0
; COMPUTE_PGM_RSRC3_GFX90A:ACCUM_OFFSET: 3
; COMPUTE_PGM_RSRC3_GFX90A:TG_SPLIT: 0
	.section	.text._Z33tail_segmented_warp_reduce_kernelIihLj32ELj8EENSt9enable_ifIXsr10test_utilsE35device_test_enabled_for_warp_size_vIXT2_EEEvE4typeEPT_PT0_S4_,"axG",@progbits,_Z33tail_segmented_warp_reduce_kernelIihLj32ELj8EENSt9enable_ifIXsr10test_utilsE35device_test_enabled_for_warp_size_vIXT2_EEEvE4typeEPT_PT0_S4_,comdat
	.protected	_Z33tail_segmented_warp_reduce_kernelIihLj32ELj8EENSt9enable_ifIXsr10test_utilsE35device_test_enabled_for_warp_size_vIXT2_EEEvE4typeEPT_PT0_S4_ ; -- Begin function _Z33tail_segmented_warp_reduce_kernelIihLj32ELj8EENSt9enable_ifIXsr10test_utilsE35device_test_enabled_for_warp_size_vIXT2_EEEvE4typeEPT_PT0_S4_
	.globl	_Z33tail_segmented_warp_reduce_kernelIihLj32ELj8EENSt9enable_ifIXsr10test_utilsE35device_test_enabled_for_warp_size_vIXT2_EEEvE4typeEPT_PT0_S4_
	.p2align	8
	.type	_Z33tail_segmented_warp_reduce_kernelIihLj32ELj8EENSt9enable_ifIXsr10test_utilsE35device_test_enabled_for_warp_size_vIXT2_EEEvE4typeEPT_PT0_S4_,@function
_Z33tail_segmented_warp_reduce_kernelIihLj32ELj8EENSt9enable_ifIXsr10test_utilsE35device_test_enabled_for_warp_size_vIXT2_EEEvE4typeEPT_PT0_S4_: ; @_Z33tail_segmented_warp_reduce_kernelIihLj32ELj8EENSt9enable_ifIXsr10test_utilsE35device_test_enabled_for_warp_size_vIXT2_EEEvE4typeEPT_PT0_S4_
; %bb.0:
	s_load_dword s7, s[4:5], 0x24
	s_load_dwordx4 s[0:3], s[4:5], 0x0
	s_load_dwordx2 s[8:9], s[4:5], 0x10
	v_mov_b32_e32 v1, 0
	s_waitcnt lgkmcnt(0)
	s_and_b32 s4, s7, 0xffff
	s_mul_i32 s6, s6, s4
	v_add_u32_e32 v0, s6, v0
	v_lshlrev_b64 v[2:3], 2, v[0:1]
	v_mov_b32_e32 v1, s1
	global_load_ubyte v4, v0, s[2:3]
	v_add_co_u32_e32 v0, vcc, s0, v2
	v_addc_co_u32_e32 v1, vcc, v1, v3, vcc
	global_load_dword v5, v[0:1], off
	v_mbcnt_lo_u32_b32 v0, -1, 0
	v_mbcnt_hi_u32_b32 v6, -1, v0
	v_and_b32_e32 v8, 7, v6
	v_cmp_ne_u32_e32 vcc, 7, v8
	v_addc_co_u32_e32 v9, vcc, 0, v6, vcc
	v_cmp_gt_u32_e32 vcc, 6, v8
	v_lshlrev_b64 v[0:1], v6, -1
	v_cndmask_b32_e64 v11, 0, 1, vcc
	v_and_b32_e32 v7, 0x78, v6
	v_lshlrev_b32_e32 v9, 2, v9
	v_lshlrev_b32_e32 v11, 1, v11
	v_add_lshl_u32 v11, v11, v6, 2
	v_add_u32_e32 v10, 2, v8
	s_waitcnt vmcnt(1)
	v_cmp_ne_u16_e32 vcc, 0, v4
	v_and_b32_e32 v1, vcc_hi, v1
	v_and_b32_e32 v0, vcc_lo, v0
	v_lshrrev_b64 v[0:1], v7, v[0:1]
	v_or_b32_e32 v0, 0x80, v0
	s_waitcnt vmcnt(0)
	ds_bpermute_b32 v4, v9, v5
	v_ffbl_b32_e32 v1, v1
	v_add_u32_e32 v1, 32, v1
	v_ffbl_b32_e32 v0, v0
	v_min_u32_e32 v0, v0, v1
	v_cmp_lt_u32_e32 vcc, v8, v0
	s_waitcnt lgkmcnt(0)
	v_cndmask_b32_e32 v1, 0, v4, vcc
	v_add_u32_e32 v1, v1, v5
	ds_bpermute_b32 v4, v11, v1
	v_cmp_gt_u32_e32 vcc, 4, v8
	v_cndmask_b32_e64 v5, 0, 1, vcc
	v_cmp_le_u32_e32 vcc, v10, v0
	v_lshlrev_b32_e32 v5, 2, v5
	s_waitcnt lgkmcnt(0)
	v_cndmask_b32_e32 v4, 0, v4, vcc
	v_add_lshl_u32 v5, v5, v6, 2
	v_add_u32_e32 v1, v1, v4
	ds_bpermute_b32 v4, v5, v1
	v_add_u32_e32 v5, 4, v8
	v_cmp_le_u32_e32 vcc, v5, v0
	v_mov_b32_e32 v6, s9
	s_waitcnt lgkmcnt(0)
	v_cndmask_b32_e32 v0, 0, v4, vcc
	v_add_u32_e32 v4, v1, v0
	v_add_co_u32_e32 v0, vcc, s8, v2
	v_addc_co_u32_e32 v1, vcc, v6, v3, vcc
	global_store_dword v[0:1], v4, off
	s_endpgm
	.section	.rodata,"a",@progbits
	.p2align	6, 0x0
	.amdhsa_kernel _Z33tail_segmented_warp_reduce_kernelIihLj32ELj8EENSt9enable_ifIXsr10test_utilsE35device_test_enabled_for_warp_size_vIXT2_EEEvE4typeEPT_PT0_S4_
		.amdhsa_group_segment_fixed_size 0
		.amdhsa_private_segment_fixed_size 0
		.amdhsa_kernarg_size 280
		.amdhsa_user_sgpr_count 6
		.amdhsa_user_sgpr_private_segment_buffer 1
		.amdhsa_user_sgpr_dispatch_ptr 0
		.amdhsa_user_sgpr_queue_ptr 0
		.amdhsa_user_sgpr_kernarg_segment_ptr 1
		.amdhsa_user_sgpr_dispatch_id 0
		.amdhsa_user_sgpr_flat_scratch_init 0
		.amdhsa_user_sgpr_kernarg_preload_length 0
		.amdhsa_user_sgpr_kernarg_preload_offset 0
		.amdhsa_user_sgpr_private_segment_size 0
		.amdhsa_uses_dynamic_stack 0
		.amdhsa_system_sgpr_private_segment_wavefront_offset 0
		.amdhsa_system_sgpr_workgroup_id_x 1
		.amdhsa_system_sgpr_workgroup_id_y 0
		.amdhsa_system_sgpr_workgroup_id_z 0
		.amdhsa_system_sgpr_workgroup_info 0
		.amdhsa_system_vgpr_workitem_id 0
		.amdhsa_next_free_vgpr 12
		.amdhsa_next_free_sgpr 10
		.amdhsa_accum_offset 12
		.amdhsa_reserve_vcc 1
		.amdhsa_reserve_flat_scratch 0
		.amdhsa_float_round_mode_32 0
		.amdhsa_float_round_mode_16_64 0
		.amdhsa_float_denorm_mode_32 3
		.amdhsa_float_denorm_mode_16_64 3
		.amdhsa_dx10_clamp 1
		.amdhsa_ieee_mode 1
		.amdhsa_fp16_overflow 0
		.amdhsa_tg_split 0
		.amdhsa_exception_fp_ieee_invalid_op 0
		.amdhsa_exception_fp_denorm_src 0
		.amdhsa_exception_fp_ieee_div_zero 0
		.amdhsa_exception_fp_ieee_overflow 0
		.amdhsa_exception_fp_ieee_underflow 0
		.amdhsa_exception_fp_ieee_inexact 0
		.amdhsa_exception_int_div_zero 0
	.end_amdhsa_kernel
	.section	.text._Z33tail_segmented_warp_reduce_kernelIihLj32ELj8EENSt9enable_ifIXsr10test_utilsE35device_test_enabled_for_warp_size_vIXT2_EEEvE4typeEPT_PT0_S4_,"axG",@progbits,_Z33tail_segmented_warp_reduce_kernelIihLj32ELj8EENSt9enable_ifIXsr10test_utilsE35device_test_enabled_for_warp_size_vIXT2_EEEvE4typeEPT_PT0_S4_,comdat
.Lfunc_end248:
	.size	_Z33tail_segmented_warp_reduce_kernelIihLj32ELj8EENSt9enable_ifIXsr10test_utilsE35device_test_enabled_for_warp_size_vIXT2_EEEvE4typeEPT_PT0_S4_, .Lfunc_end248-_Z33tail_segmented_warp_reduce_kernelIihLj32ELj8EENSt9enable_ifIXsr10test_utilsE35device_test_enabled_for_warp_size_vIXT2_EEEvE4typeEPT_PT0_S4_
                                        ; -- End function
	.section	.AMDGPU.csdata,"",@progbits
; Kernel info:
; codeLenInByte = 336
; NumSgprs: 14
; NumVgprs: 12
; NumAgprs: 0
; TotalNumVgprs: 12
; ScratchSize: 0
; MemoryBound: 0
; FloatMode: 240
; IeeeMode: 1
; LDSByteSize: 0 bytes/workgroup (compile time only)
; SGPRBlocks: 1
; VGPRBlocks: 1
; NumSGPRsForWavesPerEU: 14
; NumVGPRsForWavesPerEU: 12
; AccumOffset: 12
; Occupancy: 8
; WaveLimiterHint : 0
; COMPUTE_PGM_RSRC2:SCRATCH_EN: 0
; COMPUTE_PGM_RSRC2:USER_SGPR: 6
; COMPUTE_PGM_RSRC2:TRAP_HANDLER: 0
; COMPUTE_PGM_RSRC2:TGID_X_EN: 1
; COMPUTE_PGM_RSRC2:TGID_Y_EN: 0
; COMPUTE_PGM_RSRC2:TGID_Z_EN: 0
; COMPUTE_PGM_RSRC2:TIDIG_COMP_CNT: 0
; COMPUTE_PGM_RSRC3_GFX90A:ACCUM_OFFSET: 2
; COMPUTE_PGM_RSRC3_GFX90A:TG_SPLIT: 0
	.section	.text._Z33tail_segmented_warp_reduce_kernelIihLj64ELj8EENSt9enable_ifIXsr10test_utilsE35device_test_enabled_for_warp_size_vIXT2_EEEvE4typeEPT_PT0_S4_,"axG",@progbits,_Z33tail_segmented_warp_reduce_kernelIihLj64ELj8EENSt9enable_ifIXsr10test_utilsE35device_test_enabled_for_warp_size_vIXT2_EEEvE4typeEPT_PT0_S4_,comdat
	.protected	_Z33tail_segmented_warp_reduce_kernelIihLj64ELj8EENSt9enable_ifIXsr10test_utilsE35device_test_enabled_for_warp_size_vIXT2_EEEvE4typeEPT_PT0_S4_ ; -- Begin function _Z33tail_segmented_warp_reduce_kernelIihLj64ELj8EENSt9enable_ifIXsr10test_utilsE35device_test_enabled_for_warp_size_vIXT2_EEEvE4typeEPT_PT0_S4_
	.globl	_Z33tail_segmented_warp_reduce_kernelIihLj64ELj8EENSt9enable_ifIXsr10test_utilsE35device_test_enabled_for_warp_size_vIXT2_EEEvE4typeEPT_PT0_S4_
	.p2align	8
	.type	_Z33tail_segmented_warp_reduce_kernelIihLj64ELj8EENSt9enable_ifIXsr10test_utilsE35device_test_enabled_for_warp_size_vIXT2_EEEvE4typeEPT_PT0_S4_,@function
_Z33tail_segmented_warp_reduce_kernelIihLj64ELj8EENSt9enable_ifIXsr10test_utilsE35device_test_enabled_for_warp_size_vIXT2_EEEvE4typeEPT_PT0_S4_: ; @_Z33tail_segmented_warp_reduce_kernelIihLj64ELj8EENSt9enable_ifIXsr10test_utilsE35device_test_enabled_for_warp_size_vIXT2_EEEvE4typeEPT_PT0_S4_
; %bb.0:
	s_load_dword s7, s[4:5], 0x24
	s_load_dwordx4 s[0:3], s[4:5], 0x0
	s_load_dwordx2 s[8:9], s[4:5], 0x10
	v_mov_b32_e32 v1, 0
	s_waitcnt lgkmcnt(0)
	s_and_b32 s4, s7, 0xffff
	s_mul_i32 s6, s6, s4
	v_add_u32_e32 v0, s6, v0
	v_lshlrev_b64 v[2:3], 2, v[0:1]
	v_mov_b32_e32 v1, s1
	global_load_ubyte v4, v0, s[2:3]
	v_add_co_u32_e32 v0, vcc, s0, v2
	v_addc_co_u32_e32 v1, vcc, v1, v3, vcc
	global_load_dword v5, v[0:1], off
	v_mbcnt_lo_u32_b32 v0, -1, 0
	v_mbcnt_hi_u32_b32 v6, -1, v0
	v_and_b32_e32 v8, 7, v6
	v_cmp_ne_u32_e32 vcc, 7, v8
	v_addc_co_u32_e32 v9, vcc, 0, v6, vcc
	v_cmp_gt_u32_e32 vcc, 6, v8
	v_lshlrev_b64 v[0:1], v6, -1
	v_cndmask_b32_e64 v11, 0, 1, vcc
	v_and_b32_e32 v7, 0x78, v6
	v_lshlrev_b32_e32 v9, 2, v9
	v_lshlrev_b32_e32 v11, 1, v11
	v_add_lshl_u32 v11, v11, v6, 2
	v_add_u32_e32 v10, 2, v8
	s_waitcnt vmcnt(1)
	v_cmp_ne_u16_e32 vcc, 0, v4
	v_and_b32_e32 v1, vcc_hi, v1
	v_and_b32_e32 v0, vcc_lo, v0
	v_lshrrev_b64 v[0:1], v7, v[0:1]
	v_or_b32_e32 v0, 0x80, v0
	s_waitcnt vmcnt(0)
	ds_bpermute_b32 v4, v9, v5
	v_ffbl_b32_e32 v1, v1
	v_add_u32_e32 v1, 32, v1
	v_ffbl_b32_e32 v0, v0
	v_min_u32_e32 v0, v0, v1
	v_cmp_lt_u32_e32 vcc, v8, v0
	s_waitcnt lgkmcnt(0)
	v_cndmask_b32_e32 v1, 0, v4, vcc
	v_add_u32_e32 v1, v1, v5
	ds_bpermute_b32 v4, v11, v1
	v_cmp_gt_u32_e32 vcc, 4, v8
	v_cndmask_b32_e64 v5, 0, 1, vcc
	v_cmp_le_u32_e32 vcc, v10, v0
	v_lshlrev_b32_e32 v5, 2, v5
	s_waitcnt lgkmcnt(0)
	v_cndmask_b32_e32 v4, 0, v4, vcc
	v_add_lshl_u32 v5, v5, v6, 2
	v_add_u32_e32 v1, v1, v4
	ds_bpermute_b32 v4, v5, v1
	v_add_u32_e32 v5, 4, v8
	v_cmp_le_u32_e32 vcc, v5, v0
	v_mov_b32_e32 v6, s9
	s_waitcnt lgkmcnt(0)
	v_cndmask_b32_e32 v0, 0, v4, vcc
	v_add_u32_e32 v4, v1, v0
	v_add_co_u32_e32 v0, vcc, s8, v2
	v_addc_co_u32_e32 v1, vcc, v6, v3, vcc
	global_store_dword v[0:1], v4, off
	s_endpgm
	.section	.rodata,"a",@progbits
	.p2align	6, 0x0
	.amdhsa_kernel _Z33tail_segmented_warp_reduce_kernelIihLj64ELj8EENSt9enable_ifIXsr10test_utilsE35device_test_enabled_for_warp_size_vIXT2_EEEvE4typeEPT_PT0_S4_
		.amdhsa_group_segment_fixed_size 0
		.amdhsa_private_segment_fixed_size 0
		.amdhsa_kernarg_size 280
		.amdhsa_user_sgpr_count 6
		.amdhsa_user_sgpr_private_segment_buffer 1
		.amdhsa_user_sgpr_dispatch_ptr 0
		.amdhsa_user_sgpr_queue_ptr 0
		.amdhsa_user_sgpr_kernarg_segment_ptr 1
		.amdhsa_user_sgpr_dispatch_id 0
		.amdhsa_user_sgpr_flat_scratch_init 0
		.amdhsa_user_sgpr_kernarg_preload_length 0
		.amdhsa_user_sgpr_kernarg_preload_offset 0
		.amdhsa_user_sgpr_private_segment_size 0
		.amdhsa_uses_dynamic_stack 0
		.amdhsa_system_sgpr_private_segment_wavefront_offset 0
		.amdhsa_system_sgpr_workgroup_id_x 1
		.amdhsa_system_sgpr_workgroup_id_y 0
		.amdhsa_system_sgpr_workgroup_id_z 0
		.amdhsa_system_sgpr_workgroup_info 0
		.amdhsa_system_vgpr_workitem_id 0
		.amdhsa_next_free_vgpr 12
		.amdhsa_next_free_sgpr 10
		.amdhsa_accum_offset 12
		.amdhsa_reserve_vcc 1
		.amdhsa_reserve_flat_scratch 0
		.amdhsa_float_round_mode_32 0
		.amdhsa_float_round_mode_16_64 0
		.amdhsa_float_denorm_mode_32 3
		.amdhsa_float_denorm_mode_16_64 3
		.amdhsa_dx10_clamp 1
		.amdhsa_ieee_mode 1
		.amdhsa_fp16_overflow 0
		.amdhsa_tg_split 0
		.amdhsa_exception_fp_ieee_invalid_op 0
		.amdhsa_exception_fp_denorm_src 0
		.amdhsa_exception_fp_ieee_div_zero 0
		.amdhsa_exception_fp_ieee_overflow 0
		.amdhsa_exception_fp_ieee_underflow 0
		.amdhsa_exception_fp_ieee_inexact 0
		.amdhsa_exception_int_div_zero 0
	.end_amdhsa_kernel
	.section	.text._Z33tail_segmented_warp_reduce_kernelIihLj64ELj8EENSt9enable_ifIXsr10test_utilsE35device_test_enabled_for_warp_size_vIXT2_EEEvE4typeEPT_PT0_S4_,"axG",@progbits,_Z33tail_segmented_warp_reduce_kernelIihLj64ELj8EENSt9enable_ifIXsr10test_utilsE35device_test_enabled_for_warp_size_vIXT2_EEEvE4typeEPT_PT0_S4_,comdat
.Lfunc_end249:
	.size	_Z33tail_segmented_warp_reduce_kernelIihLj64ELj8EENSt9enable_ifIXsr10test_utilsE35device_test_enabled_for_warp_size_vIXT2_EEEvE4typeEPT_PT0_S4_, .Lfunc_end249-_Z33tail_segmented_warp_reduce_kernelIihLj64ELj8EENSt9enable_ifIXsr10test_utilsE35device_test_enabled_for_warp_size_vIXT2_EEEvE4typeEPT_PT0_S4_
                                        ; -- End function
	.section	.AMDGPU.csdata,"",@progbits
; Kernel info:
; codeLenInByte = 336
; NumSgprs: 14
; NumVgprs: 12
; NumAgprs: 0
; TotalNumVgprs: 12
; ScratchSize: 0
; MemoryBound: 0
; FloatMode: 240
; IeeeMode: 1
; LDSByteSize: 0 bytes/workgroup (compile time only)
; SGPRBlocks: 1
; VGPRBlocks: 1
; NumSGPRsForWavesPerEU: 14
; NumVGPRsForWavesPerEU: 12
; AccumOffset: 12
; Occupancy: 8
; WaveLimiterHint : 0
; COMPUTE_PGM_RSRC2:SCRATCH_EN: 0
; COMPUTE_PGM_RSRC2:USER_SGPR: 6
; COMPUTE_PGM_RSRC2:TRAP_HANDLER: 0
; COMPUTE_PGM_RSRC2:TGID_X_EN: 1
; COMPUTE_PGM_RSRC2:TGID_Y_EN: 0
; COMPUTE_PGM_RSRC2:TGID_Z_EN: 0
; COMPUTE_PGM_RSRC2:TIDIG_COMP_CNT: 0
; COMPUTE_PGM_RSRC3_GFX90A:ACCUM_OFFSET: 2
; COMPUTE_PGM_RSRC3_GFX90A:TG_SPLIT: 0
	.section	.text._Z33tail_segmented_warp_reduce_kernelIihLj32ELj4EENSt9enable_ifIXsr10test_utilsE35device_test_enabled_for_warp_size_vIXT2_EEEvE4typeEPT_PT0_S4_,"axG",@progbits,_Z33tail_segmented_warp_reduce_kernelIihLj32ELj4EENSt9enable_ifIXsr10test_utilsE35device_test_enabled_for_warp_size_vIXT2_EEEvE4typeEPT_PT0_S4_,comdat
	.protected	_Z33tail_segmented_warp_reduce_kernelIihLj32ELj4EENSt9enable_ifIXsr10test_utilsE35device_test_enabled_for_warp_size_vIXT2_EEEvE4typeEPT_PT0_S4_ ; -- Begin function _Z33tail_segmented_warp_reduce_kernelIihLj32ELj4EENSt9enable_ifIXsr10test_utilsE35device_test_enabled_for_warp_size_vIXT2_EEEvE4typeEPT_PT0_S4_
	.globl	_Z33tail_segmented_warp_reduce_kernelIihLj32ELj4EENSt9enable_ifIXsr10test_utilsE35device_test_enabled_for_warp_size_vIXT2_EEEvE4typeEPT_PT0_S4_
	.p2align	8
	.type	_Z33tail_segmented_warp_reduce_kernelIihLj32ELj4EENSt9enable_ifIXsr10test_utilsE35device_test_enabled_for_warp_size_vIXT2_EEEvE4typeEPT_PT0_S4_,@function
_Z33tail_segmented_warp_reduce_kernelIihLj32ELj4EENSt9enable_ifIXsr10test_utilsE35device_test_enabled_for_warp_size_vIXT2_EEEvE4typeEPT_PT0_S4_: ; @_Z33tail_segmented_warp_reduce_kernelIihLj32ELj4EENSt9enable_ifIXsr10test_utilsE35device_test_enabled_for_warp_size_vIXT2_EEEvE4typeEPT_PT0_S4_
; %bb.0:
	s_load_dword s7, s[4:5], 0x24
	s_load_dwordx4 s[0:3], s[4:5], 0x0
	s_load_dwordx2 s[8:9], s[4:5], 0x10
	v_mov_b32_e32 v1, 0
	s_waitcnt lgkmcnt(0)
	s_and_b32 s4, s7, 0xffff
	s_mul_i32 s6, s6, s4
	v_add_u32_e32 v0, s6, v0
	v_lshlrev_b64 v[2:3], 2, v[0:1]
	v_mov_b32_e32 v1, s1
	global_load_ubyte v4, v0, s[2:3]
	v_add_co_u32_e32 v0, vcc, s0, v2
	v_addc_co_u32_e32 v1, vcc, v1, v3, vcc
	global_load_dword v5, v[0:1], off
	v_mbcnt_lo_u32_b32 v0, -1, 0
	v_mbcnt_hi_u32_b32 v6, -1, v0
	v_and_b32_e32 v8, 3, v6
	v_cmp_ne_u32_e32 vcc, 3, v8
	v_addc_co_u32_e32 v9, vcc, 0, v6, vcc
	v_cmp_gt_u32_e32 vcc, 2, v8
	v_lshlrev_b64 v[0:1], v6, -1
	v_cndmask_b32_e64 v10, 0, 1, vcc
	v_and_b32_e32 v7, 0x7c, v6
	v_lshlrev_b32_e32 v9, 2, v9
	v_lshlrev_b32_e32 v10, 1, v10
	v_add_lshl_u32 v6, v10, v6, 2
	s_waitcnt vmcnt(1)
	v_cmp_ne_u16_e32 vcc, 0, v4
	v_and_b32_e32 v1, vcc_hi, v1
	v_and_b32_e32 v0, vcc_lo, v0
	v_lshrrev_b64 v[0:1], v7, v[0:1]
	v_or_b32_e32 v0, 8, v0
	s_waitcnt vmcnt(0)
	ds_bpermute_b32 v4, v9, v5
	v_ffbl_b32_e32 v1, v1
	v_add_u32_e32 v1, 32, v1
	v_ffbl_b32_e32 v0, v0
	v_min_u32_e32 v0, v0, v1
	v_cmp_lt_u32_e32 vcc, v8, v0
	s_waitcnt lgkmcnt(0)
	v_cndmask_b32_e32 v1, 0, v4, vcc
	v_add_u32_e32 v1, v1, v5
	ds_bpermute_b32 v4, v6, v1
	v_add_u32_e32 v5, 2, v8
	v_cmp_le_u32_e32 vcc, v5, v0
	v_mov_b32_e32 v6, s9
	s_waitcnt lgkmcnt(0)
	v_cndmask_b32_e32 v0, 0, v4, vcc
	v_add_u32_e32 v4, v1, v0
	v_add_co_u32_e32 v0, vcc, s8, v2
	v_addc_co_u32_e32 v1, vcc, v6, v3, vcc
	global_store_dword v[0:1], v4, off
	s_endpgm
	.section	.rodata,"a",@progbits
	.p2align	6, 0x0
	.amdhsa_kernel _Z33tail_segmented_warp_reduce_kernelIihLj32ELj4EENSt9enable_ifIXsr10test_utilsE35device_test_enabled_for_warp_size_vIXT2_EEEvE4typeEPT_PT0_S4_
		.amdhsa_group_segment_fixed_size 0
		.amdhsa_private_segment_fixed_size 0
		.amdhsa_kernarg_size 280
		.amdhsa_user_sgpr_count 6
		.amdhsa_user_sgpr_private_segment_buffer 1
		.amdhsa_user_sgpr_dispatch_ptr 0
		.amdhsa_user_sgpr_queue_ptr 0
		.amdhsa_user_sgpr_kernarg_segment_ptr 1
		.amdhsa_user_sgpr_dispatch_id 0
		.amdhsa_user_sgpr_flat_scratch_init 0
		.amdhsa_user_sgpr_kernarg_preload_length 0
		.amdhsa_user_sgpr_kernarg_preload_offset 0
		.amdhsa_user_sgpr_private_segment_size 0
		.amdhsa_uses_dynamic_stack 0
		.amdhsa_system_sgpr_private_segment_wavefront_offset 0
		.amdhsa_system_sgpr_workgroup_id_x 1
		.amdhsa_system_sgpr_workgroup_id_y 0
		.amdhsa_system_sgpr_workgroup_id_z 0
		.amdhsa_system_sgpr_workgroup_info 0
		.amdhsa_system_vgpr_workitem_id 0
		.amdhsa_next_free_vgpr 11
		.amdhsa_next_free_sgpr 10
		.amdhsa_accum_offset 12
		.amdhsa_reserve_vcc 1
		.amdhsa_reserve_flat_scratch 0
		.amdhsa_float_round_mode_32 0
		.amdhsa_float_round_mode_16_64 0
		.amdhsa_float_denorm_mode_32 3
		.amdhsa_float_denorm_mode_16_64 3
		.amdhsa_dx10_clamp 1
		.amdhsa_ieee_mode 1
		.amdhsa_fp16_overflow 0
		.amdhsa_tg_split 0
		.amdhsa_exception_fp_ieee_invalid_op 0
		.amdhsa_exception_fp_denorm_src 0
		.amdhsa_exception_fp_ieee_div_zero 0
		.amdhsa_exception_fp_ieee_overflow 0
		.amdhsa_exception_fp_ieee_underflow 0
		.amdhsa_exception_fp_ieee_inexact 0
		.amdhsa_exception_int_div_zero 0
	.end_amdhsa_kernel
	.section	.text._Z33tail_segmented_warp_reduce_kernelIihLj32ELj4EENSt9enable_ifIXsr10test_utilsE35device_test_enabled_for_warp_size_vIXT2_EEEvE4typeEPT_PT0_S4_,"axG",@progbits,_Z33tail_segmented_warp_reduce_kernelIihLj32ELj4EENSt9enable_ifIXsr10test_utilsE35device_test_enabled_for_warp_size_vIXT2_EEEvE4typeEPT_PT0_S4_,comdat
.Lfunc_end250:
	.size	_Z33tail_segmented_warp_reduce_kernelIihLj32ELj4EENSt9enable_ifIXsr10test_utilsE35device_test_enabled_for_warp_size_vIXT2_EEEvE4typeEPT_PT0_S4_, .Lfunc_end250-_Z33tail_segmented_warp_reduce_kernelIihLj32ELj4EENSt9enable_ifIXsr10test_utilsE35device_test_enabled_for_warp_size_vIXT2_EEEvE4typeEPT_PT0_S4_
                                        ; -- End function
	.section	.AMDGPU.csdata,"",@progbits
; Kernel info:
; codeLenInByte = 280
; NumSgprs: 14
; NumVgprs: 11
; NumAgprs: 0
; TotalNumVgprs: 11
; ScratchSize: 0
; MemoryBound: 0
; FloatMode: 240
; IeeeMode: 1
; LDSByteSize: 0 bytes/workgroup (compile time only)
; SGPRBlocks: 1
; VGPRBlocks: 1
; NumSGPRsForWavesPerEU: 14
; NumVGPRsForWavesPerEU: 11
; AccumOffset: 12
; Occupancy: 8
; WaveLimiterHint : 0
; COMPUTE_PGM_RSRC2:SCRATCH_EN: 0
; COMPUTE_PGM_RSRC2:USER_SGPR: 6
; COMPUTE_PGM_RSRC2:TRAP_HANDLER: 0
; COMPUTE_PGM_RSRC2:TGID_X_EN: 1
; COMPUTE_PGM_RSRC2:TGID_Y_EN: 0
; COMPUTE_PGM_RSRC2:TGID_Z_EN: 0
; COMPUTE_PGM_RSRC2:TIDIG_COMP_CNT: 0
; COMPUTE_PGM_RSRC3_GFX90A:ACCUM_OFFSET: 2
; COMPUTE_PGM_RSRC3_GFX90A:TG_SPLIT: 0
	.section	.text._Z33tail_segmented_warp_reduce_kernelIihLj64ELj4EENSt9enable_ifIXsr10test_utilsE35device_test_enabled_for_warp_size_vIXT2_EEEvE4typeEPT_PT0_S4_,"axG",@progbits,_Z33tail_segmented_warp_reduce_kernelIihLj64ELj4EENSt9enable_ifIXsr10test_utilsE35device_test_enabled_for_warp_size_vIXT2_EEEvE4typeEPT_PT0_S4_,comdat
	.protected	_Z33tail_segmented_warp_reduce_kernelIihLj64ELj4EENSt9enable_ifIXsr10test_utilsE35device_test_enabled_for_warp_size_vIXT2_EEEvE4typeEPT_PT0_S4_ ; -- Begin function _Z33tail_segmented_warp_reduce_kernelIihLj64ELj4EENSt9enable_ifIXsr10test_utilsE35device_test_enabled_for_warp_size_vIXT2_EEEvE4typeEPT_PT0_S4_
	.globl	_Z33tail_segmented_warp_reduce_kernelIihLj64ELj4EENSt9enable_ifIXsr10test_utilsE35device_test_enabled_for_warp_size_vIXT2_EEEvE4typeEPT_PT0_S4_
	.p2align	8
	.type	_Z33tail_segmented_warp_reduce_kernelIihLj64ELj4EENSt9enable_ifIXsr10test_utilsE35device_test_enabled_for_warp_size_vIXT2_EEEvE4typeEPT_PT0_S4_,@function
_Z33tail_segmented_warp_reduce_kernelIihLj64ELj4EENSt9enable_ifIXsr10test_utilsE35device_test_enabled_for_warp_size_vIXT2_EEEvE4typeEPT_PT0_S4_: ; @_Z33tail_segmented_warp_reduce_kernelIihLj64ELj4EENSt9enable_ifIXsr10test_utilsE35device_test_enabled_for_warp_size_vIXT2_EEEvE4typeEPT_PT0_S4_
; %bb.0:
	s_load_dword s7, s[4:5], 0x24
	s_load_dwordx4 s[0:3], s[4:5], 0x0
	s_load_dwordx2 s[8:9], s[4:5], 0x10
	v_mov_b32_e32 v1, 0
	s_waitcnt lgkmcnt(0)
	s_and_b32 s4, s7, 0xffff
	s_mul_i32 s6, s6, s4
	v_add_u32_e32 v0, s6, v0
	v_lshlrev_b64 v[2:3], 2, v[0:1]
	v_mov_b32_e32 v1, s1
	global_load_ubyte v4, v0, s[2:3]
	v_add_co_u32_e32 v0, vcc, s0, v2
	v_addc_co_u32_e32 v1, vcc, v1, v3, vcc
	global_load_dword v5, v[0:1], off
	v_mbcnt_lo_u32_b32 v0, -1, 0
	v_mbcnt_hi_u32_b32 v6, -1, v0
	v_and_b32_e32 v8, 3, v6
	v_cmp_ne_u32_e32 vcc, 3, v8
	v_addc_co_u32_e32 v9, vcc, 0, v6, vcc
	v_cmp_gt_u32_e32 vcc, 2, v8
	v_lshlrev_b64 v[0:1], v6, -1
	v_cndmask_b32_e64 v10, 0, 1, vcc
	v_and_b32_e32 v7, 0x7c, v6
	v_lshlrev_b32_e32 v9, 2, v9
	v_lshlrev_b32_e32 v10, 1, v10
	v_add_lshl_u32 v6, v10, v6, 2
	s_waitcnt vmcnt(1)
	v_cmp_ne_u16_e32 vcc, 0, v4
	v_and_b32_e32 v1, vcc_hi, v1
	v_and_b32_e32 v0, vcc_lo, v0
	v_lshrrev_b64 v[0:1], v7, v[0:1]
	v_or_b32_e32 v0, 8, v0
	s_waitcnt vmcnt(0)
	ds_bpermute_b32 v4, v9, v5
	v_ffbl_b32_e32 v1, v1
	v_add_u32_e32 v1, 32, v1
	v_ffbl_b32_e32 v0, v0
	v_min_u32_e32 v0, v0, v1
	v_cmp_lt_u32_e32 vcc, v8, v0
	s_waitcnt lgkmcnt(0)
	v_cndmask_b32_e32 v1, 0, v4, vcc
	v_add_u32_e32 v1, v1, v5
	ds_bpermute_b32 v4, v6, v1
	v_add_u32_e32 v5, 2, v8
	v_cmp_le_u32_e32 vcc, v5, v0
	v_mov_b32_e32 v6, s9
	s_waitcnt lgkmcnt(0)
	v_cndmask_b32_e32 v0, 0, v4, vcc
	v_add_u32_e32 v4, v1, v0
	v_add_co_u32_e32 v0, vcc, s8, v2
	v_addc_co_u32_e32 v1, vcc, v6, v3, vcc
	global_store_dword v[0:1], v4, off
	s_endpgm
	.section	.rodata,"a",@progbits
	.p2align	6, 0x0
	.amdhsa_kernel _Z33tail_segmented_warp_reduce_kernelIihLj64ELj4EENSt9enable_ifIXsr10test_utilsE35device_test_enabled_for_warp_size_vIXT2_EEEvE4typeEPT_PT0_S4_
		.amdhsa_group_segment_fixed_size 0
		.amdhsa_private_segment_fixed_size 0
		.amdhsa_kernarg_size 280
		.amdhsa_user_sgpr_count 6
		.amdhsa_user_sgpr_private_segment_buffer 1
		.amdhsa_user_sgpr_dispatch_ptr 0
		.amdhsa_user_sgpr_queue_ptr 0
		.amdhsa_user_sgpr_kernarg_segment_ptr 1
		.amdhsa_user_sgpr_dispatch_id 0
		.amdhsa_user_sgpr_flat_scratch_init 0
		.amdhsa_user_sgpr_kernarg_preload_length 0
		.amdhsa_user_sgpr_kernarg_preload_offset 0
		.amdhsa_user_sgpr_private_segment_size 0
		.amdhsa_uses_dynamic_stack 0
		.amdhsa_system_sgpr_private_segment_wavefront_offset 0
		.amdhsa_system_sgpr_workgroup_id_x 1
		.amdhsa_system_sgpr_workgroup_id_y 0
		.amdhsa_system_sgpr_workgroup_id_z 0
		.amdhsa_system_sgpr_workgroup_info 0
		.amdhsa_system_vgpr_workitem_id 0
		.amdhsa_next_free_vgpr 11
		.amdhsa_next_free_sgpr 10
		.amdhsa_accum_offset 12
		.amdhsa_reserve_vcc 1
		.amdhsa_reserve_flat_scratch 0
		.amdhsa_float_round_mode_32 0
		.amdhsa_float_round_mode_16_64 0
		.amdhsa_float_denorm_mode_32 3
		.amdhsa_float_denorm_mode_16_64 3
		.amdhsa_dx10_clamp 1
		.amdhsa_ieee_mode 1
		.amdhsa_fp16_overflow 0
		.amdhsa_tg_split 0
		.amdhsa_exception_fp_ieee_invalid_op 0
		.amdhsa_exception_fp_denorm_src 0
		.amdhsa_exception_fp_ieee_div_zero 0
		.amdhsa_exception_fp_ieee_overflow 0
		.amdhsa_exception_fp_ieee_underflow 0
		.amdhsa_exception_fp_ieee_inexact 0
		.amdhsa_exception_int_div_zero 0
	.end_amdhsa_kernel
	.section	.text._Z33tail_segmented_warp_reduce_kernelIihLj64ELj4EENSt9enable_ifIXsr10test_utilsE35device_test_enabled_for_warp_size_vIXT2_EEEvE4typeEPT_PT0_S4_,"axG",@progbits,_Z33tail_segmented_warp_reduce_kernelIihLj64ELj4EENSt9enable_ifIXsr10test_utilsE35device_test_enabled_for_warp_size_vIXT2_EEEvE4typeEPT_PT0_S4_,comdat
.Lfunc_end251:
	.size	_Z33tail_segmented_warp_reduce_kernelIihLj64ELj4EENSt9enable_ifIXsr10test_utilsE35device_test_enabled_for_warp_size_vIXT2_EEEvE4typeEPT_PT0_S4_, .Lfunc_end251-_Z33tail_segmented_warp_reduce_kernelIihLj64ELj4EENSt9enable_ifIXsr10test_utilsE35device_test_enabled_for_warp_size_vIXT2_EEEvE4typeEPT_PT0_S4_
                                        ; -- End function
	.section	.AMDGPU.csdata,"",@progbits
; Kernel info:
; codeLenInByte = 280
; NumSgprs: 14
; NumVgprs: 11
; NumAgprs: 0
; TotalNumVgprs: 11
; ScratchSize: 0
; MemoryBound: 0
; FloatMode: 240
; IeeeMode: 1
; LDSByteSize: 0 bytes/workgroup (compile time only)
; SGPRBlocks: 1
; VGPRBlocks: 1
; NumSGPRsForWavesPerEU: 14
; NumVGPRsForWavesPerEU: 11
; AccumOffset: 12
; Occupancy: 8
; WaveLimiterHint : 0
; COMPUTE_PGM_RSRC2:SCRATCH_EN: 0
; COMPUTE_PGM_RSRC2:USER_SGPR: 6
; COMPUTE_PGM_RSRC2:TRAP_HANDLER: 0
; COMPUTE_PGM_RSRC2:TGID_X_EN: 1
; COMPUTE_PGM_RSRC2:TGID_Y_EN: 0
; COMPUTE_PGM_RSRC2:TGID_Z_EN: 0
; COMPUTE_PGM_RSRC2:TIDIG_COMP_CNT: 0
; COMPUTE_PGM_RSRC3_GFX90A:ACCUM_OFFSET: 2
; COMPUTE_PGM_RSRC3_GFX90A:TG_SPLIT: 0
	.section	.text._Z33tail_segmented_warp_reduce_kernelIihLj32ELj2EENSt9enable_ifIXsr10test_utilsE35device_test_enabled_for_warp_size_vIXT2_EEEvE4typeEPT_PT0_S4_,"axG",@progbits,_Z33tail_segmented_warp_reduce_kernelIihLj32ELj2EENSt9enable_ifIXsr10test_utilsE35device_test_enabled_for_warp_size_vIXT2_EEEvE4typeEPT_PT0_S4_,comdat
	.protected	_Z33tail_segmented_warp_reduce_kernelIihLj32ELj2EENSt9enable_ifIXsr10test_utilsE35device_test_enabled_for_warp_size_vIXT2_EEEvE4typeEPT_PT0_S4_ ; -- Begin function _Z33tail_segmented_warp_reduce_kernelIihLj32ELj2EENSt9enable_ifIXsr10test_utilsE35device_test_enabled_for_warp_size_vIXT2_EEEvE4typeEPT_PT0_S4_
	.globl	_Z33tail_segmented_warp_reduce_kernelIihLj32ELj2EENSt9enable_ifIXsr10test_utilsE35device_test_enabled_for_warp_size_vIXT2_EEEvE4typeEPT_PT0_S4_
	.p2align	8
	.type	_Z33tail_segmented_warp_reduce_kernelIihLj32ELj2EENSt9enable_ifIXsr10test_utilsE35device_test_enabled_for_warp_size_vIXT2_EEEvE4typeEPT_PT0_S4_,@function
_Z33tail_segmented_warp_reduce_kernelIihLj32ELj2EENSt9enable_ifIXsr10test_utilsE35device_test_enabled_for_warp_size_vIXT2_EEEvE4typeEPT_PT0_S4_: ; @_Z33tail_segmented_warp_reduce_kernelIihLj32ELj2EENSt9enable_ifIXsr10test_utilsE35device_test_enabled_for_warp_size_vIXT2_EEEvE4typeEPT_PT0_S4_
; %bb.0:
	s_load_dword s7, s[4:5], 0x24
	s_load_dwordx4 s[0:3], s[4:5], 0x0
	s_load_dwordx2 s[8:9], s[4:5], 0x10
	v_mov_b32_e32 v1, 0
	s_waitcnt lgkmcnt(0)
	s_and_b32 s4, s7, 0xffff
	s_mul_i32 s6, s6, s4
	v_add_u32_e32 v0, s6, v0
	v_lshlrev_b64 v[2:3], 2, v[0:1]
	v_mov_b32_e32 v1, s1
	global_load_ubyte v4, v0, s[2:3]
	v_add_co_u32_e32 v0, vcc, s0, v2
	v_addc_co_u32_e32 v1, vcc, v1, v3, vcc
	global_load_dword v5, v[0:1], off
	v_mbcnt_lo_u32_b32 v0, -1, 0
	v_mbcnt_hi_u32_b32 v6, -1, v0
	v_lshlrev_b64 v[0:1], v6, -1
	v_and_b32_e32 v7, 0x7e, v6
	v_and_b32_e32 v8, 1, v6
	v_lshl_or_b32 v6, v6, 2, 4
	v_mov_b32_e32 v9, s9
	s_waitcnt vmcnt(1)
	v_cmp_ne_u16_e32 vcc, 0, v4
	v_and_b32_e32 v1, vcc_hi, v1
	v_and_b32_e32 v0, vcc_lo, v0
	v_lshrrev_b64 v[0:1], v7, v[0:1]
	v_or_b32_e32 v0, 2, v0
	s_waitcnt vmcnt(0)
	ds_bpermute_b32 v4, v6, v5
	v_ffbl_b32_e32 v1, v1
	v_add_u32_e32 v1, 32, v1
	v_ffbl_b32_e32 v0, v0
	v_min_u32_e32 v0, v0, v1
	v_cmp_lt_u32_e32 vcc, v8, v0
	s_waitcnt lgkmcnt(0)
	v_cndmask_b32_e32 v0, 0, v4, vcc
	v_add_u32_e32 v4, v0, v5
	v_add_co_u32_e32 v0, vcc, s8, v2
	v_addc_co_u32_e32 v1, vcc, v9, v3, vcc
	global_store_dword v[0:1], v4, off
	s_endpgm
	.section	.rodata,"a",@progbits
	.p2align	6, 0x0
	.amdhsa_kernel _Z33tail_segmented_warp_reduce_kernelIihLj32ELj2EENSt9enable_ifIXsr10test_utilsE35device_test_enabled_for_warp_size_vIXT2_EEEvE4typeEPT_PT0_S4_
		.amdhsa_group_segment_fixed_size 0
		.amdhsa_private_segment_fixed_size 0
		.amdhsa_kernarg_size 280
		.amdhsa_user_sgpr_count 6
		.amdhsa_user_sgpr_private_segment_buffer 1
		.amdhsa_user_sgpr_dispatch_ptr 0
		.amdhsa_user_sgpr_queue_ptr 0
		.amdhsa_user_sgpr_kernarg_segment_ptr 1
		.amdhsa_user_sgpr_dispatch_id 0
		.amdhsa_user_sgpr_flat_scratch_init 0
		.amdhsa_user_sgpr_kernarg_preload_length 0
		.amdhsa_user_sgpr_kernarg_preload_offset 0
		.amdhsa_user_sgpr_private_segment_size 0
		.amdhsa_uses_dynamic_stack 0
		.amdhsa_system_sgpr_private_segment_wavefront_offset 0
		.amdhsa_system_sgpr_workgroup_id_x 1
		.amdhsa_system_sgpr_workgroup_id_y 0
		.amdhsa_system_sgpr_workgroup_id_z 0
		.amdhsa_system_sgpr_workgroup_info 0
		.amdhsa_system_vgpr_workitem_id 0
		.amdhsa_next_free_vgpr 10
		.amdhsa_next_free_sgpr 10
		.amdhsa_accum_offset 12
		.amdhsa_reserve_vcc 1
		.amdhsa_reserve_flat_scratch 0
		.amdhsa_float_round_mode_32 0
		.amdhsa_float_round_mode_16_64 0
		.amdhsa_float_denorm_mode_32 3
		.amdhsa_float_denorm_mode_16_64 3
		.amdhsa_dx10_clamp 1
		.amdhsa_ieee_mode 1
		.amdhsa_fp16_overflow 0
		.amdhsa_tg_split 0
		.amdhsa_exception_fp_ieee_invalid_op 0
		.amdhsa_exception_fp_denorm_src 0
		.amdhsa_exception_fp_ieee_div_zero 0
		.amdhsa_exception_fp_ieee_overflow 0
		.amdhsa_exception_fp_ieee_underflow 0
		.amdhsa_exception_fp_ieee_inexact 0
		.amdhsa_exception_int_div_zero 0
	.end_amdhsa_kernel
	.section	.text._Z33tail_segmented_warp_reduce_kernelIihLj32ELj2EENSt9enable_ifIXsr10test_utilsE35device_test_enabled_for_warp_size_vIXT2_EEEvE4typeEPT_PT0_S4_,"axG",@progbits,_Z33tail_segmented_warp_reduce_kernelIihLj32ELj2EENSt9enable_ifIXsr10test_utilsE35device_test_enabled_for_warp_size_vIXT2_EEEvE4typeEPT_PT0_S4_,comdat
.Lfunc_end252:
	.size	_Z33tail_segmented_warp_reduce_kernelIihLj32ELj2EENSt9enable_ifIXsr10test_utilsE35device_test_enabled_for_warp_size_vIXT2_EEEvE4typeEPT_PT0_S4_, .Lfunc_end252-_Z33tail_segmented_warp_reduce_kernelIihLj32ELj2EENSt9enable_ifIXsr10test_utilsE35device_test_enabled_for_warp_size_vIXT2_EEEvE4typeEPT_PT0_S4_
                                        ; -- End function
	.section	.AMDGPU.csdata,"",@progbits
; Kernel info:
; codeLenInByte = 224
; NumSgprs: 14
; NumVgprs: 10
; NumAgprs: 0
; TotalNumVgprs: 10
; ScratchSize: 0
; MemoryBound: 0
; FloatMode: 240
; IeeeMode: 1
; LDSByteSize: 0 bytes/workgroup (compile time only)
; SGPRBlocks: 1
; VGPRBlocks: 1
; NumSGPRsForWavesPerEU: 14
; NumVGPRsForWavesPerEU: 10
; AccumOffset: 12
; Occupancy: 8
; WaveLimiterHint : 0
; COMPUTE_PGM_RSRC2:SCRATCH_EN: 0
; COMPUTE_PGM_RSRC2:USER_SGPR: 6
; COMPUTE_PGM_RSRC2:TRAP_HANDLER: 0
; COMPUTE_PGM_RSRC2:TGID_X_EN: 1
; COMPUTE_PGM_RSRC2:TGID_Y_EN: 0
; COMPUTE_PGM_RSRC2:TGID_Z_EN: 0
; COMPUTE_PGM_RSRC2:TIDIG_COMP_CNT: 0
; COMPUTE_PGM_RSRC3_GFX90A:ACCUM_OFFSET: 2
; COMPUTE_PGM_RSRC3_GFX90A:TG_SPLIT: 0
	.section	.text._Z33tail_segmented_warp_reduce_kernelIihLj64ELj2EENSt9enable_ifIXsr10test_utilsE35device_test_enabled_for_warp_size_vIXT2_EEEvE4typeEPT_PT0_S4_,"axG",@progbits,_Z33tail_segmented_warp_reduce_kernelIihLj64ELj2EENSt9enable_ifIXsr10test_utilsE35device_test_enabled_for_warp_size_vIXT2_EEEvE4typeEPT_PT0_S4_,comdat
	.protected	_Z33tail_segmented_warp_reduce_kernelIihLj64ELj2EENSt9enable_ifIXsr10test_utilsE35device_test_enabled_for_warp_size_vIXT2_EEEvE4typeEPT_PT0_S4_ ; -- Begin function _Z33tail_segmented_warp_reduce_kernelIihLj64ELj2EENSt9enable_ifIXsr10test_utilsE35device_test_enabled_for_warp_size_vIXT2_EEEvE4typeEPT_PT0_S4_
	.globl	_Z33tail_segmented_warp_reduce_kernelIihLj64ELj2EENSt9enable_ifIXsr10test_utilsE35device_test_enabled_for_warp_size_vIXT2_EEEvE4typeEPT_PT0_S4_
	.p2align	8
	.type	_Z33tail_segmented_warp_reduce_kernelIihLj64ELj2EENSt9enable_ifIXsr10test_utilsE35device_test_enabled_for_warp_size_vIXT2_EEEvE4typeEPT_PT0_S4_,@function
_Z33tail_segmented_warp_reduce_kernelIihLj64ELj2EENSt9enable_ifIXsr10test_utilsE35device_test_enabled_for_warp_size_vIXT2_EEEvE4typeEPT_PT0_S4_: ; @_Z33tail_segmented_warp_reduce_kernelIihLj64ELj2EENSt9enable_ifIXsr10test_utilsE35device_test_enabled_for_warp_size_vIXT2_EEEvE4typeEPT_PT0_S4_
; %bb.0:
	s_load_dword s7, s[4:5], 0x24
	s_load_dwordx4 s[0:3], s[4:5], 0x0
	s_load_dwordx2 s[8:9], s[4:5], 0x10
	v_mov_b32_e32 v1, 0
	s_waitcnt lgkmcnt(0)
	s_and_b32 s4, s7, 0xffff
	s_mul_i32 s6, s6, s4
	v_add_u32_e32 v0, s6, v0
	v_lshlrev_b64 v[2:3], 2, v[0:1]
	v_mov_b32_e32 v1, s1
	global_load_ubyte v4, v0, s[2:3]
	v_add_co_u32_e32 v0, vcc, s0, v2
	v_addc_co_u32_e32 v1, vcc, v1, v3, vcc
	global_load_dword v5, v[0:1], off
	v_mbcnt_lo_u32_b32 v0, -1, 0
	v_mbcnt_hi_u32_b32 v6, -1, v0
	v_lshlrev_b64 v[0:1], v6, -1
	v_and_b32_e32 v7, 0x7e, v6
	v_and_b32_e32 v8, 1, v6
	v_lshl_or_b32 v6, v6, 2, 4
	v_mov_b32_e32 v9, s9
	s_waitcnt vmcnt(1)
	v_cmp_ne_u16_e32 vcc, 0, v4
	v_and_b32_e32 v1, vcc_hi, v1
	v_and_b32_e32 v0, vcc_lo, v0
	v_lshrrev_b64 v[0:1], v7, v[0:1]
	v_or_b32_e32 v0, 2, v0
	s_waitcnt vmcnt(0)
	ds_bpermute_b32 v4, v6, v5
	v_ffbl_b32_e32 v1, v1
	v_add_u32_e32 v1, 32, v1
	v_ffbl_b32_e32 v0, v0
	v_min_u32_e32 v0, v0, v1
	v_cmp_lt_u32_e32 vcc, v8, v0
	s_waitcnt lgkmcnt(0)
	v_cndmask_b32_e32 v0, 0, v4, vcc
	v_add_u32_e32 v4, v0, v5
	v_add_co_u32_e32 v0, vcc, s8, v2
	v_addc_co_u32_e32 v1, vcc, v9, v3, vcc
	global_store_dword v[0:1], v4, off
	s_endpgm
	.section	.rodata,"a",@progbits
	.p2align	6, 0x0
	.amdhsa_kernel _Z33tail_segmented_warp_reduce_kernelIihLj64ELj2EENSt9enable_ifIXsr10test_utilsE35device_test_enabled_for_warp_size_vIXT2_EEEvE4typeEPT_PT0_S4_
		.amdhsa_group_segment_fixed_size 0
		.amdhsa_private_segment_fixed_size 0
		.amdhsa_kernarg_size 280
		.amdhsa_user_sgpr_count 6
		.amdhsa_user_sgpr_private_segment_buffer 1
		.amdhsa_user_sgpr_dispatch_ptr 0
		.amdhsa_user_sgpr_queue_ptr 0
		.amdhsa_user_sgpr_kernarg_segment_ptr 1
		.amdhsa_user_sgpr_dispatch_id 0
		.amdhsa_user_sgpr_flat_scratch_init 0
		.amdhsa_user_sgpr_kernarg_preload_length 0
		.amdhsa_user_sgpr_kernarg_preload_offset 0
		.amdhsa_user_sgpr_private_segment_size 0
		.amdhsa_uses_dynamic_stack 0
		.amdhsa_system_sgpr_private_segment_wavefront_offset 0
		.amdhsa_system_sgpr_workgroup_id_x 1
		.amdhsa_system_sgpr_workgroup_id_y 0
		.amdhsa_system_sgpr_workgroup_id_z 0
		.amdhsa_system_sgpr_workgroup_info 0
		.amdhsa_system_vgpr_workitem_id 0
		.amdhsa_next_free_vgpr 10
		.amdhsa_next_free_sgpr 10
		.amdhsa_accum_offset 12
		.amdhsa_reserve_vcc 1
		.amdhsa_reserve_flat_scratch 0
		.amdhsa_float_round_mode_32 0
		.amdhsa_float_round_mode_16_64 0
		.amdhsa_float_denorm_mode_32 3
		.amdhsa_float_denorm_mode_16_64 3
		.amdhsa_dx10_clamp 1
		.amdhsa_ieee_mode 1
		.amdhsa_fp16_overflow 0
		.amdhsa_tg_split 0
		.amdhsa_exception_fp_ieee_invalid_op 0
		.amdhsa_exception_fp_denorm_src 0
		.amdhsa_exception_fp_ieee_div_zero 0
		.amdhsa_exception_fp_ieee_overflow 0
		.amdhsa_exception_fp_ieee_underflow 0
		.amdhsa_exception_fp_ieee_inexact 0
		.amdhsa_exception_int_div_zero 0
	.end_amdhsa_kernel
	.section	.text._Z33tail_segmented_warp_reduce_kernelIihLj64ELj2EENSt9enable_ifIXsr10test_utilsE35device_test_enabled_for_warp_size_vIXT2_EEEvE4typeEPT_PT0_S4_,"axG",@progbits,_Z33tail_segmented_warp_reduce_kernelIihLj64ELj2EENSt9enable_ifIXsr10test_utilsE35device_test_enabled_for_warp_size_vIXT2_EEEvE4typeEPT_PT0_S4_,comdat
.Lfunc_end253:
	.size	_Z33tail_segmented_warp_reduce_kernelIihLj64ELj2EENSt9enable_ifIXsr10test_utilsE35device_test_enabled_for_warp_size_vIXT2_EEEvE4typeEPT_PT0_S4_, .Lfunc_end253-_Z33tail_segmented_warp_reduce_kernelIihLj64ELj2EENSt9enable_ifIXsr10test_utilsE35device_test_enabled_for_warp_size_vIXT2_EEEvE4typeEPT_PT0_S4_
                                        ; -- End function
	.section	.AMDGPU.csdata,"",@progbits
; Kernel info:
; codeLenInByte = 224
; NumSgprs: 14
; NumVgprs: 10
; NumAgprs: 0
; TotalNumVgprs: 10
; ScratchSize: 0
; MemoryBound: 0
; FloatMode: 240
; IeeeMode: 1
; LDSByteSize: 0 bytes/workgroup (compile time only)
; SGPRBlocks: 1
; VGPRBlocks: 1
; NumSGPRsForWavesPerEU: 14
; NumVGPRsForWavesPerEU: 10
; AccumOffset: 12
; Occupancy: 8
; WaveLimiterHint : 0
; COMPUTE_PGM_RSRC2:SCRATCH_EN: 0
; COMPUTE_PGM_RSRC2:USER_SGPR: 6
; COMPUTE_PGM_RSRC2:TRAP_HANDLER: 0
; COMPUTE_PGM_RSRC2:TGID_X_EN: 1
; COMPUTE_PGM_RSRC2:TGID_Y_EN: 0
; COMPUTE_PGM_RSRC2:TGID_Z_EN: 0
; COMPUTE_PGM_RSRC2:TIDIG_COMP_CNT: 0
; COMPUTE_PGM_RSRC3_GFX90A:ACCUM_OFFSET: 2
; COMPUTE_PGM_RSRC3_GFX90A:TG_SPLIT: 0
	.section	.text._Z33tail_segmented_warp_reduce_kernelIihLj32ELj1EENSt9enable_ifIXsr10test_utilsE35device_test_enabled_for_warp_size_vIXT2_EEEvE4typeEPT_PT0_S4_,"axG",@progbits,_Z33tail_segmented_warp_reduce_kernelIihLj32ELj1EENSt9enable_ifIXsr10test_utilsE35device_test_enabled_for_warp_size_vIXT2_EEEvE4typeEPT_PT0_S4_,comdat
	.protected	_Z33tail_segmented_warp_reduce_kernelIihLj32ELj1EENSt9enable_ifIXsr10test_utilsE35device_test_enabled_for_warp_size_vIXT2_EEEvE4typeEPT_PT0_S4_ ; -- Begin function _Z33tail_segmented_warp_reduce_kernelIihLj32ELj1EENSt9enable_ifIXsr10test_utilsE35device_test_enabled_for_warp_size_vIXT2_EEEvE4typeEPT_PT0_S4_
	.globl	_Z33tail_segmented_warp_reduce_kernelIihLj32ELj1EENSt9enable_ifIXsr10test_utilsE35device_test_enabled_for_warp_size_vIXT2_EEEvE4typeEPT_PT0_S4_
	.p2align	8
	.type	_Z33tail_segmented_warp_reduce_kernelIihLj32ELj1EENSt9enable_ifIXsr10test_utilsE35device_test_enabled_for_warp_size_vIXT2_EEEvE4typeEPT_PT0_S4_,@function
_Z33tail_segmented_warp_reduce_kernelIihLj32ELj1EENSt9enable_ifIXsr10test_utilsE35device_test_enabled_for_warp_size_vIXT2_EEEvE4typeEPT_PT0_S4_: ; @_Z33tail_segmented_warp_reduce_kernelIihLj32ELj1EENSt9enable_ifIXsr10test_utilsE35device_test_enabled_for_warp_size_vIXT2_EEEvE4typeEPT_PT0_S4_
; %bb.0:
	s_load_dword s7, s[4:5], 0x24
	s_load_dwordx2 s[0:1], s[4:5], 0x0
	s_load_dwordx2 s[2:3], s[4:5], 0x10
	v_mov_b32_e32 v1, 0
	s_waitcnt lgkmcnt(0)
	s_and_b32 s4, s7, 0xffff
	s_mul_i32 s6, s6, s4
	v_add_u32_e32 v0, s6, v0
	v_lshlrev_b64 v[0:1], 2, v[0:1]
	v_mov_b32_e32 v3, s1
	v_add_co_u32_e32 v2, vcc, s0, v0
	v_addc_co_u32_e32 v3, vcc, v3, v1, vcc
	global_load_dword v2, v[2:3], off
	v_mov_b32_e32 v3, s3
	v_add_co_u32_e32 v0, vcc, s2, v0
	v_addc_co_u32_e32 v1, vcc, v3, v1, vcc
	s_waitcnt vmcnt(0)
	global_store_dword v[0:1], v2, off
	s_endpgm
	.section	.rodata,"a",@progbits
	.p2align	6, 0x0
	.amdhsa_kernel _Z33tail_segmented_warp_reduce_kernelIihLj32ELj1EENSt9enable_ifIXsr10test_utilsE35device_test_enabled_for_warp_size_vIXT2_EEEvE4typeEPT_PT0_S4_
		.amdhsa_group_segment_fixed_size 0
		.amdhsa_private_segment_fixed_size 0
		.amdhsa_kernarg_size 280
		.amdhsa_user_sgpr_count 6
		.amdhsa_user_sgpr_private_segment_buffer 1
		.amdhsa_user_sgpr_dispatch_ptr 0
		.amdhsa_user_sgpr_queue_ptr 0
		.amdhsa_user_sgpr_kernarg_segment_ptr 1
		.amdhsa_user_sgpr_dispatch_id 0
		.amdhsa_user_sgpr_flat_scratch_init 0
		.amdhsa_user_sgpr_kernarg_preload_length 0
		.amdhsa_user_sgpr_kernarg_preload_offset 0
		.amdhsa_user_sgpr_private_segment_size 0
		.amdhsa_uses_dynamic_stack 0
		.amdhsa_system_sgpr_private_segment_wavefront_offset 0
		.amdhsa_system_sgpr_workgroup_id_x 1
		.amdhsa_system_sgpr_workgroup_id_y 0
		.amdhsa_system_sgpr_workgroup_id_z 0
		.amdhsa_system_sgpr_workgroup_info 0
		.amdhsa_system_vgpr_workitem_id 0
		.amdhsa_next_free_vgpr 4
		.amdhsa_next_free_sgpr 8
		.amdhsa_accum_offset 4
		.amdhsa_reserve_vcc 1
		.amdhsa_reserve_flat_scratch 0
		.amdhsa_float_round_mode_32 0
		.amdhsa_float_round_mode_16_64 0
		.amdhsa_float_denorm_mode_32 3
		.amdhsa_float_denorm_mode_16_64 3
		.amdhsa_dx10_clamp 1
		.amdhsa_ieee_mode 1
		.amdhsa_fp16_overflow 0
		.amdhsa_tg_split 0
		.amdhsa_exception_fp_ieee_invalid_op 0
		.amdhsa_exception_fp_denorm_src 0
		.amdhsa_exception_fp_ieee_div_zero 0
		.amdhsa_exception_fp_ieee_overflow 0
		.amdhsa_exception_fp_ieee_underflow 0
		.amdhsa_exception_fp_ieee_inexact 0
		.amdhsa_exception_int_div_zero 0
	.end_amdhsa_kernel
	.section	.text._Z33tail_segmented_warp_reduce_kernelIihLj32ELj1EENSt9enable_ifIXsr10test_utilsE35device_test_enabled_for_warp_size_vIXT2_EEEvE4typeEPT_PT0_S4_,"axG",@progbits,_Z33tail_segmented_warp_reduce_kernelIihLj32ELj1EENSt9enable_ifIXsr10test_utilsE35device_test_enabled_for_warp_size_vIXT2_EEEvE4typeEPT_PT0_S4_,comdat
.Lfunc_end254:
	.size	_Z33tail_segmented_warp_reduce_kernelIihLj32ELj1EENSt9enable_ifIXsr10test_utilsE35device_test_enabled_for_warp_size_vIXT2_EEEvE4typeEPT_PT0_S4_, .Lfunc_end254-_Z33tail_segmented_warp_reduce_kernelIihLj32ELj1EENSt9enable_ifIXsr10test_utilsE35device_test_enabled_for_warp_size_vIXT2_EEEvE4typeEPT_PT0_S4_
                                        ; -- End function
	.section	.AMDGPU.csdata,"",@progbits
; Kernel info:
; codeLenInByte = 104
; NumSgprs: 12
; NumVgprs: 4
; NumAgprs: 0
; TotalNumVgprs: 4
; ScratchSize: 0
; MemoryBound: 0
; FloatMode: 240
; IeeeMode: 1
; LDSByteSize: 0 bytes/workgroup (compile time only)
; SGPRBlocks: 1
; VGPRBlocks: 0
; NumSGPRsForWavesPerEU: 12
; NumVGPRsForWavesPerEU: 4
; AccumOffset: 4
; Occupancy: 8
; WaveLimiterHint : 0
; COMPUTE_PGM_RSRC2:SCRATCH_EN: 0
; COMPUTE_PGM_RSRC2:USER_SGPR: 6
; COMPUTE_PGM_RSRC2:TRAP_HANDLER: 0
; COMPUTE_PGM_RSRC2:TGID_X_EN: 1
; COMPUTE_PGM_RSRC2:TGID_Y_EN: 0
; COMPUTE_PGM_RSRC2:TGID_Z_EN: 0
; COMPUTE_PGM_RSRC2:TIDIG_COMP_CNT: 0
; COMPUTE_PGM_RSRC3_GFX90A:ACCUM_OFFSET: 0
; COMPUTE_PGM_RSRC3_GFX90A:TG_SPLIT: 0
	.section	.text._Z33tail_segmented_warp_reduce_kernelIihLj64ELj1EENSt9enable_ifIXsr10test_utilsE35device_test_enabled_for_warp_size_vIXT2_EEEvE4typeEPT_PT0_S4_,"axG",@progbits,_Z33tail_segmented_warp_reduce_kernelIihLj64ELj1EENSt9enable_ifIXsr10test_utilsE35device_test_enabled_for_warp_size_vIXT2_EEEvE4typeEPT_PT0_S4_,comdat
	.protected	_Z33tail_segmented_warp_reduce_kernelIihLj64ELj1EENSt9enable_ifIXsr10test_utilsE35device_test_enabled_for_warp_size_vIXT2_EEEvE4typeEPT_PT0_S4_ ; -- Begin function _Z33tail_segmented_warp_reduce_kernelIihLj64ELj1EENSt9enable_ifIXsr10test_utilsE35device_test_enabled_for_warp_size_vIXT2_EEEvE4typeEPT_PT0_S4_
	.globl	_Z33tail_segmented_warp_reduce_kernelIihLj64ELj1EENSt9enable_ifIXsr10test_utilsE35device_test_enabled_for_warp_size_vIXT2_EEEvE4typeEPT_PT0_S4_
	.p2align	8
	.type	_Z33tail_segmented_warp_reduce_kernelIihLj64ELj1EENSt9enable_ifIXsr10test_utilsE35device_test_enabled_for_warp_size_vIXT2_EEEvE4typeEPT_PT0_S4_,@function
_Z33tail_segmented_warp_reduce_kernelIihLj64ELj1EENSt9enable_ifIXsr10test_utilsE35device_test_enabled_for_warp_size_vIXT2_EEEvE4typeEPT_PT0_S4_: ; @_Z33tail_segmented_warp_reduce_kernelIihLj64ELj1EENSt9enable_ifIXsr10test_utilsE35device_test_enabled_for_warp_size_vIXT2_EEEvE4typeEPT_PT0_S4_
; %bb.0:
	s_load_dword s7, s[4:5], 0x24
	s_load_dwordx2 s[0:1], s[4:5], 0x0
	s_load_dwordx2 s[2:3], s[4:5], 0x10
	v_mov_b32_e32 v1, 0
	s_waitcnt lgkmcnt(0)
	s_and_b32 s4, s7, 0xffff
	s_mul_i32 s6, s6, s4
	v_add_u32_e32 v0, s6, v0
	v_lshlrev_b64 v[0:1], 2, v[0:1]
	v_mov_b32_e32 v3, s1
	v_add_co_u32_e32 v2, vcc, s0, v0
	v_addc_co_u32_e32 v3, vcc, v3, v1, vcc
	global_load_dword v2, v[2:3], off
	v_mov_b32_e32 v3, s3
	v_add_co_u32_e32 v0, vcc, s2, v0
	v_addc_co_u32_e32 v1, vcc, v3, v1, vcc
	s_waitcnt vmcnt(0)
	global_store_dword v[0:1], v2, off
	s_endpgm
	.section	.rodata,"a",@progbits
	.p2align	6, 0x0
	.amdhsa_kernel _Z33tail_segmented_warp_reduce_kernelIihLj64ELj1EENSt9enable_ifIXsr10test_utilsE35device_test_enabled_for_warp_size_vIXT2_EEEvE4typeEPT_PT0_S4_
		.amdhsa_group_segment_fixed_size 0
		.amdhsa_private_segment_fixed_size 0
		.amdhsa_kernarg_size 280
		.amdhsa_user_sgpr_count 6
		.amdhsa_user_sgpr_private_segment_buffer 1
		.amdhsa_user_sgpr_dispatch_ptr 0
		.amdhsa_user_sgpr_queue_ptr 0
		.amdhsa_user_sgpr_kernarg_segment_ptr 1
		.amdhsa_user_sgpr_dispatch_id 0
		.amdhsa_user_sgpr_flat_scratch_init 0
		.amdhsa_user_sgpr_kernarg_preload_length 0
		.amdhsa_user_sgpr_kernarg_preload_offset 0
		.amdhsa_user_sgpr_private_segment_size 0
		.amdhsa_uses_dynamic_stack 0
		.amdhsa_system_sgpr_private_segment_wavefront_offset 0
		.amdhsa_system_sgpr_workgroup_id_x 1
		.amdhsa_system_sgpr_workgroup_id_y 0
		.amdhsa_system_sgpr_workgroup_id_z 0
		.amdhsa_system_sgpr_workgroup_info 0
		.amdhsa_system_vgpr_workitem_id 0
		.amdhsa_next_free_vgpr 4
		.amdhsa_next_free_sgpr 8
		.amdhsa_accum_offset 4
		.amdhsa_reserve_vcc 1
		.amdhsa_reserve_flat_scratch 0
		.amdhsa_float_round_mode_32 0
		.amdhsa_float_round_mode_16_64 0
		.amdhsa_float_denorm_mode_32 3
		.amdhsa_float_denorm_mode_16_64 3
		.amdhsa_dx10_clamp 1
		.amdhsa_ieee_mode 1
		.amdhsa_fp16_overflow 0
		.amdhsa_tg_split 0
		.amdhsa_exception_fp_ieee_invalid_op 0
		.amdhsa_exception_fp_denorm_src 0
		.amdhsa_exception_fp_ieee_div_zero 0
		.amdhsa_exception_fp_ieee_overflow 0
		.amdhsa_exception_fp_ieee_underflow 0
		.amdhsa_exception_fp_ieee_inexact 0
		.amdhsa_exception_int_div_zero 0
	.end_amdhsa_kernel
	.section	.text._Z33tail_segmented_warp_reduce_kernelIihLj64ELj1EENSt9enable_ifIXsr10test_utilsE35device_test_enabled_for_warp_size_vIXT2_EEEvE4typeEPT_PT0_S4_,"axG",@progbits,_Z33tail_segmented_warp_reduce_kernelIihLj64ELj1EENSt9enable_ifIXsr10test_utilsE35device_test_enabled_for_warp_size_vIXT2_EEEvE4typeEPT_PT0_S4_,comdat
.Lfunc_end255:
	.size	_Z33tail_segmented_warp_reduce_kernelIihLj64ELj1EENSt9enable_ifIXsr10test_utilsE35device_test_enabled_for_warp_size_vIXT2_EEEvE4typeEPT_PT0_S4_, .Lfunc_end255-_Z33tail_segmented_warp_reduce_kernelIihLj64ELj1EENSt9enable_ifIXsr10test_utilsE35device_test_enabled_for_warp_size_vIXT2_EEEvE4typeEPT_PT0_S4_
                                        ; -- End function
	.section	.AMDGPU.csdata,"",@progbits
; Kernel info:
; codeLenInByte = 104
; NumSgprs: 12
; NumVgprs: 4
; NumAgprs: 0
; TotalNumVgprs: 4
; ScratchSize: 0
; MemoryBound: 0
; FloatMode: 240
; IeeeMode: 1
; LDSByteSize: 0 bytes/workgroup (compile time only)
; SGPRBlocks: 1
; VGPRBlocks: 0
; NumSGPRsForWavesPerEU: 12
; NumVGPRsForWavesPerEU: 4
; AccumOffset: 4
; Occupancy: 8
; WaveLimiterHint : 0
; COMPUTE_PGM_RSRC2:SCRATCH_EN: 0
; COMPUTE_PGM_RSRC2:USER_SGPR: 6
; COMPUTE_PGM_RSRC2:TRAP_HANDLER: 0
; COMPUTE_PGM_RSRC2:TGID_X_EN: 1
; COMPUTE_PGM_RSRC2:TGID_Y_EN: 0
; COMPUTE_PGM_RSRC2:TGID_Z_EN: 0
; COMPUTE_PGM_RSRC2:TIDIG_COMP_CNT: 0
; COMPUTE_PGM_RSRC3_GFX90A:ACCUM_OFFSET: 0
; COMPUTE_PGM_RSRC3_GFX90A:TG_SPLIT: 0
	.text
	.p2alignl 6, 3212836864
	.fill 256, 4, 3212836864
	.type	__hip_cuid_a6c8b15cc373033b,@object ; @__hip_cuid_a6c8b15cc373033b
	.section	.bss,"aw",@nobits
	.globl	__hip_cuid_a6c8b15cc373033b
__hip_cuid_a6c8b15cc373033b:
	.byte	0                               ; 0x0
	.size	__hip_cuid_a6c8b15cc373033b, 1

	.ident	"AMD clang version 19.0.0git (https://github.com/RadeonOpenCompute/llvm-project roc-6.4.0 25133 c7fe45cf4b819c5991fe208aaa96edf142730f1d)"
	.section	".note.GNU-stack","",@progbits
	.addrsig
	.addrsig_sym __hip_cuid_a6c8b15cc373033b
	.amdgpu_metadata
---
amdhsa.kernels:
  - .agpr_count:     0
    .args:
      - .address_space:  global
        .offset:         0
        .size:           8
        .value_kind:     global_buffer
      - .address_space:  global
        .offset:         8
        .size:           8
        .value_kind:     global_buffer
      - .offset:         16
        .size:           4
        .value_kind:     hidden_block_count_x
      - .offset:         20
        .size:           4
        .value_kind:     hidden_block_count_y
      - .offset:         24
        .size:           4
        .value_kind:     hidden_block_count_z
      - .offset:         28
        .size:           2
        .value_kind:     hidden_group_size_x
      - .offset:         30
        .size:           2
        .value_kind:     hidden_group_size_y
      - .offset:         32
        .size:           2
        .value_kind:     hidden_group_size_z
      - .offset:         34
        .size:           2
        .value_kind:     hidden_remainder_x
      - .offset:         36
        .size:           2
        .value_kind:     hidden_remainder_y
      - .offset:         38
        .size:           2
        .value_kind:     hidden_remainder_z
      - .offset:         56
        .size:           8
        .value_kind:     hidden_global_offset_x
      - .offset:         64
        .size:           8
        .value_kind:     hidden_global_offset_y
      - .offset:         72
        .size:           8
        .value_kind:     hidden_global_offset_z
      - .offset:         80
        .size:           2
        .value_kind:     hidden_grid_dims
    .group_segment_fixed_size: 244
    .kernarg_segment_align: 8
    .kernarg_segment_size: 272
    .language:       OpenCL C
    .language_version:
      - 2
      - 0
    .max_flat_workgroup_size: 1
    .name:           _Z18warp_reduce_kernelIfLj1ELj61EENSt9enable_ifIXsr10test_utilsE35device_test_enabled_for_warp_size_vIXT1_EEEvE4typeEPT_S4_
    .private_segment_fixed_size: 0
    .sgpr_count:     12
    .sgpr_spill_count: 0
    .symbol:         _Z18warp_reduce_kernelIfLj1ELj61EENSt9enable_ifIXsr10test_utilsE35device_test_enabled_for_warp_size_vIXT1_EEEvE4typeEPT_S4_.kd
    .uniform_work_group_size: 1
    .uses_dynamic_stack: false
    .vgpr_count:     4
    .vgpr_spill_count: 0
    .wavefront_size: 64
  - .agpr_count:     0
    .args:
      - .address_space:  global
        .offset:         0
        .size:           8
        .value_kind:     global_buffer
      - .address_space:  global
        .offset:         8
        .size:           8
        .value_kind:     global_buffer
      - .offset:         16
        .size:           4
        .value_kind:     hidden_block_count_x
      - .offset:         20
        .size:           4
        .value_kind:     hidden_block_count_y
      - .offset:         24
        .size:           4
        .value_kind:     hidden_block_count_z
      - .offset:         28
        .size:           2
        .value_kind:     hidden_group_size_x
      - .offset:         30
        .size:           2
        .value_kind:     hidden_group_size_y
      - .offset:         32
        .size:           2
        .value_kind:     hidden_group_size_z
      - .offset:         34
        .size:           2
        .value_kind:     hidden_remainder_x
      - .offset:         36
        .size:           2
        .value_kind:     hidden_remainder_y
      - .offset:         38
        .size:           2
        .value_kind:     hidden_remainder_z
      - .offset:         56
        .size:           8
        .value_kind:     hidden_global_offset_x
      - .offset:         64
        .size:           8
        .value_kind:     hidden_global_offset_y
      - .offset:         72
        .size:           8
        .value_kind:     hidden_global_offset_z
      - .offset:         80
        .size:           2
        .value_kind:     hidden_grid_dims
    .group_segment_fixed_size: 244
    .kernarg_segment_align: 8
    .kernarg_segment_size: 272
    .language:       OpenCL C
    .language_version:
      - 2
      - 0
    .max_flat_workgroup_size: 61
    .name:           _Z18warp_reduce_kernelIfLj61ELj61EENSt9enable_ifIXsr10test_utilsE35device_test_enabled_for_warp_size_vIXT1_EEEvE4typeEPT_S4_
    .private_segment_fixed_size: 0
    .sgpr_count:     12
    .sgpr_spill_count: 0
    .symbol:         _Z18warp_reduce_kernelIfLj61ELj61EENSt9enable_ifIXsr10test_utilsE35device_test_enabled_for_warp_size_vIXT1_EEEvE4typeEPT_S4_.kd
    .uniform_work_group_size: 1
    .uses_dynamic_stack: false
    .vgpr_count:     8
    .vgpr_spill_count: 0
    .wavefront_size: 64
  - .agpr_count:     0
    .args:
      - .address_space:  global
        .offset:         0
        .size:           8
        .value_kind:     global_buffer
      - .address_space:  global
        .offset:         8
        .size:           8
        .value_kind:     global_buffer
      - .offset:         16
        .size:           4
        .value_kind:     hidden_block_count_x
      - .offset:         20
        .size:           4
        .value_kind:     hidden_block_count_y
      - .offset:         24
        .size:           4
        .value_kind:     hidden_block_count_z
      - .offset:         28
        .size:           2
        .value_kind:     hidden_group_size_x
      - .offset:         30
        .size:           2
        .value_kind:     hidden_group_size_y
      - .offset:         32
        .size:           2
        .value_kind:     hidden_group_size_z
      - .offset:         34
        .size:           2
        .value_kind:     hidden_remainder_x
      - .offset:         36
        .size:           2
        .value_kind:     hidden_remainder_y
      - .offset:         38
        .size:           2
        .value_kind:     hidden_remainder_z
      - .offset:         56
        .size:           8
        .value_kind:     hidden_global_offset_x
      - .offset:         64
        .size:           8
        .value_kind:     hidden_global_offset_y
      - .offset:         72
        .size:           8
        .value_kind:     hidden_global_offset_z
      - .offset:         80
        .size:           2
        .value_kind:     hidden_grid_dims
    .group_segment_fixed_size: 148
    .kernarg_segment_align: 8
    .kernarg_segment_size: 272
    .language:       OpenCL C
    .language_version:
      - 2
      - 0
    .max_flat_workgroup_size: 1
    .name:           _Z18warp_reduce_kernelIfLj1ELj37EENSt9enable_ifIXsr10test_utilsE35device_test_enabled_for_warp_size_vIXT1_EEEvE4typeEPT_S4_
    .private_segment_fixed_size: 0
    .sgpr_count:     12
    .sgpr_spill_count: 0
    .symbol:         _Z18warp_reduce_kernelIfLj1ELj37EENSt9enable_ifIXsr10test_utilsE35device_test_enabled_for_warp_size_vIXT1_EEEvE4typeEPT_S4_.kd
    .uniform_work_group_size: 1
    .uses_dynamic_stack: false
    .vgpr_count:     4
    .vgpr_spill_count: 0
    .wavefront_size: 64
  - .agpr_count:     0
    .args:
      - .address_space:  global
        .offset:         0
        .size:           8
        .value_kind:     global_buffer
      - .address_space:  global
        .offset:         8
        .size:           8
        .value_kind:     global_buffer
      - .offset:         16
        .size:           4
        .value_kind:     hidden_block_count_x
      - .offset:         20
        .size:           4
        .value_kind:     hidden_block_count_y
      - .offset:         24
        .size:           4
        .value_kind:     hidden_block_count_z
      - .offset:         28
        .size:           2
        .value_kind:     hidden_group_size_x
      - .offset:         30
        .size:           2
        .value_kind:     hidden_group_size_y
      - .offset:         32
        .size:           2
        .value_kind:     hidden_group_size_z
      - .offset:         34
        .size:           2
        .value_kind:     hidden_remainder_x
      - .offset:         36
        .size:           2
        .value_kind:     hidden_remainder_y
      - .offset:         38
        .size:           2
        .value_kind:     hidden_remainder_z
      - .offset:         56
        .size:           8
        .value_kind:     hidden_global_offset_x
      - .offset:         64
        .size:           8
        .value_kind:     hidden_global_offset_y
      - .offset:         72
        .size:           8
        .value_kind:     hidden_global_offset_z
      - .offset:         80
        .size:           2
        .value_kind:     hidden_grid_dims
    .group_segment_fixed_size: 148
    .kernarg_segment_align: 8
    .kernarg_segment_size: 272
    .language:       OpenCL C
    .language_version:
      - 2
      - 0
    .max_flat_workgroup_size: 37
    .name:           _Z18warp_reduce_kernelIfLj37ELj37EENSt9enable_ifIXsr10test_utilsE35device_test_enabled_for_warp_size_vIXT1_EEEvE4typeEPT_S4_
    .private_segment_fixed_size: 0
    .sgpr_count:     12
    .sgpr_spill_count: 0
    .symbol:         _Z18warp_reduce_kernelIfLj37ELj37EENSt9enable_ifIXsr10test_utilsE35device_test_enabled_for_warp_size_vIXT1_EEEvE4typeEPT_S4_.kd
    .uniform_work_group_size: 1
    .uses_dynamic_stack: false
    .vgpr_count:     8
    .vgpr_spill_count: 0
    .wavefront_size: 64
  - .agpr_count:     0
    .args:
      - .address_space:  global
        .offset:         0
        .size:           8
        .value_kind:     global_buffer
      - .address_space:  global
        .offset:         8
        .size:           8
        .value_kind:     global_buffer
      - .offset:         16
        .size:           4
        .value_kind:     hidden_block_count_x
      - .offset:         20
        .size:           4
        .value_kind:     hidden_block_count_y
      - .offset:         24
        .size:           4
        .value_kind:     hidden_block_count_z
      - .offset:         28
        .size:           2
        .value_kind:     hidden_group_size_x
      - .offset:         30
        .size:           2
        .value_kind:     hidden_group_size_y
      - .offset:         32
        .size:           2
        .value_kind:     hidden_group_size_z
      - .offset:         34
        .size:           2
        .value_kind:     hidden_remainder_x
      - .offset:         36
        .size:           2
        .value_kind:     hidden_remainder_y
      - .offset:         38
        .size:           2
        .value_kind:     hidden_remainder_z
      - .offset:         56
        .size:           8
        .value_kind:     hidden_global_offset_x
      - .offset:         64
        .size:           8
        .value_kind:     hidden_global_offset_y
      - .offset:         72
        .size:           8
        .value_kind:     hidden_global_offset_z
      - .offset:         80
        .size:           2
        .value_kind:     hidden_grid_dims
    .group_segment_fixed_size: 120
    .kernarg_segment_align: 8
    .kernarg_segment_size: 272
    .language:       OpenCL C
    .language_version:
      - 2
      - 0
    .max_flat_workgroup_size: 30
    .name:           _Z18warp_reduce_kernelIfLj30ELj15EENSt9enable_ifIXsr10test_utilsE35device_test_enabled_for_warp_size_vIXT1_EEEvE4typeEPT_S4_
    .private_segment_fixed_size: 0
    .sgpr_count:     12
    .sgpr_spill_count: 0
    .symbol:         _Z18warp_reduce_kernelIfLj30ELj15EENSt9enable_ifIXsr10test_utilsE35device_test_enabled_for_warp_size_vIXT1_EEEvE4typeEPT_S4_.kd
    .uniform_work_group_size: 1
    .uses_dynamic_stack: false
    .vgpr_count:     8
    .vgpr_spill_count: 0
    .wavefront_size: 64
  - .agpr_count:     0
    .args:
      - .address_space:  global
        .offset:         0
        .size:           8
        .value_kind:     global_buffer
      - .address_space:  global
        .offset:         8
        .size:           8
        .value_kind:     global_buffer
      - .offset:         16
        .size:           4
        .value_kind:     hidden_block_count_x
      - .offset:         20
        .size:           4
        .value_kind:     hidden_block_count_y
      - .offset:         24
        .size:           4
        .value_kind:     hidden_block_count_z
      - .offset:         28
        .size:           2
        .value_kind:     hidden_group_size_x
      - .offset:         30
        .size:           2
        .value_kind:     hidden_group_size_y
      - .offset:         32
        .size:           2
        .value_kind:     hidden_group_size_z
      - .offset:         34
        .size:           2
        .value_kind:     hidden_remainder_x
      - .offset:         36
        .size:           2
        .value_kind:     hidden_remainder_y
      - .offset:         38
        .size:           2
        .value_kind:     hidden_remainder_z
      - .offset:         56
        .size:           8
        .value_kind:     hidden_global_offset_x
      - .offset:         64
        .size:           8
        .value_kind:     hidden_global_offset_y
      - .offset:         72
        .size:           8
        .value_kind:     hidden_global_offset_z
      - .offset:         80
        .size:           2
        .value_kind:     hidden_grid_dims
    .group_segment_fixed_size: 240
    .kernarg_segment_align: 8
    .kernarg_segment_size: 272
    .language:       OpenCL C
    .language_version:
      - 2
      - 0
    .max_flat_workgroup_size: 60
    .name:           _Z18warp_reduce_kernelIfLj60ELj15EENSt9enable_ifIXsr10test_utilsE35device_test_enabled_for_warp_size_vIXT1_EEEvE4typeEPT_S4_
    .private_segment_fixed_size: 0
    .sgpr_count:     12
    .sgpr_spill_count: 0
    .symbol:         _Z18warp_reduce_kernelIfLj60ELj15EENSt9enable_ifIXsr10test_utilsE35device_test_enabled_for_warp_size_vIXT1_EEEvE4typeEPT_S4_.kd
    .uniform_work_group_size: 1
    .uses_dynamic_stack: false
    .vgpr_count:     8
    .vgpr_spill_count: 0
    .wavefront_size: 64
  - .agpr_count:     0
    .args:
      - .address_space:  global
        .offset:         0
        .size:           8
        .value_kind:     global_buffer
      - .address_space:  global
        .offset:         8
        .size:           8
        .value_kind:     global_buffer
      - .offset:         16
        .size:           4
        .value_kind:     hidden_block_count_x
      - .offset:         20
        .size:           4
        .value_kind:     hidden_block_count_y
      - .offset:         24
        .size:           4
        .value_kind:     hidden_block_count_z
      - .offset:         28
        .size:           2
        .value_kind:     hidden_group_size_x
      - .offset:         30
        .size:           2
        .value_kind:     hidden_group_size_y
      - .offset:         32
        .size:           2
        .value_kind:     hidden_group_size_z
      - .offset:         34
        .size:           2
        .value_kind:     hidden_remainder_x
      - .offset:         36
        .size:           2
        .value_kind:     hidden_remainder_y
      - .offset:         38
        .size:           2
        .value_kind:     hidden_remainder_z
      - .offset:         56
        .size:           8
        .value_kind:     hidden_global_offset_x
      - .offset:         64
        .size:           8
        .value_kind:     hidden_global_offset_y
      - .offset:         72
        .size:           8
        .value_kind:     hidden_global_offset_z
      - .offset:         80
        .size:           2
        .value_kind:     hidden_grid_dims
    .group_segment_fixed_size: 112
    .kernarg_segment_align: 8
    .kernarg_segment_size: 272
    .language:       OpenCL C
    .language_version:
      - 2
      - 0
    .max_flat_workgroup_size: 28
    .name:           _Z18warp_reduce_kernelIfLj28ELj7EENSt9enable_ifIXsr10test_utilsE35device_test_enabled_for_warp_size_vIXT1_EEEvE4typeEPT_S4_
    .private_segment_fixed_size: 0
    .sgpr_count:     12
    .sgpr_spill_count: 0
    .symbol:         _Z18warp_reduce_kernelIfLj28ELj7EENSt9enable_ifIXsr10test_utilsE35device_test_enabled_for_warp_size_vIXT1_EEEvE4typeEPT_S4_.kd
    .uniform_work_group_size: 1
    .uses_dynamic_stack: false
    .vgpr_count:     8
    .vgpr_spill_count: 0
    .wavefront_size: 64
  - .agpr_count:     0
    .args:
      - .address_space:  global
        .offset:         0
        .size:           8
        .value_kind:     global_buffer
      - .address_space:  global
        .offset:         8
        .size:           8
        .value_kind:     global_buffer
      - .offset:         16
        .size:           4
        .value_kind:     hidden_block_count_x
      - .offset:         20
        .size:           4
        .value_kind:     hidden_block_count_y
      - .offset:         24
        .size:           4
        .value_kind:     hidden_block_count_z
      - .offset:         28
        .size:           2
        .value_kind:     hidden_group_size_x
      - .offset:         30
        .size:           2
        .value_kind:     hidden_group_size_y
      - .offset:         32
        .size:           2
        .value_kind:     hidden_group_size_z
      - .offset:         34
        .size:           2
        .value_kind:     hidden_remainder_x
      - .offset:         36
        .size:           2
        .value_kind:     hidden_remainder_y
      - .offset:         38
        .size:           2
        .value_kind:     hidden_remainder_z
      - .offset:         56
        .size:           8
        .value_kind:     hidden_global_offset_x
      - .offset:         64
        .size:           8
        .value_kind:     hidden_global_offset_y
      - .offset:         72
        .size:           8
        .value_kind:     hidden_global_offset_z
      - .offset:         80
        .size:           2
        .value_kind:     hidden_grid_dims
    .group_segment_fixed_size: 252
    .kernarg_segment_align: 8
    .kernarg_segment_size: 272
    .language:       OpenCL C
    .language_version:
      - 2
      - 0
    .max_flat_workgroup_size: 63
    .name:           _Z18warp_reduce_kernelIfLj63ELj7EENSt9enable_ifIXsr10test_utilsE35device_test_enabled_for_warp_size_vIXT1_EEEvE4typeEPT_S4_
    .private_segment_fixed_size: 0
    .sgpr_count:     12
    .sgpr_spill_count: 0
    .symbol:         _Z18warp_reduce_kernelIfLj63ELj7EENSt9enable_ifIXsr10test_utilsE35device_test_enabled_for_warp_size_vIXT1_EEEvE4typeEPT_S4_.kd
    .uniform_work_group_size: 1
    .uses_dynamic_stack: false
    .vgpr_count:     8
    .vgpr_spill_count: 0
    .wavefront_size: 64
  - .agpr_count:     0
    .args:
      - .address_space:  global
        .offset:         0
        .size:           8
        .value_kind:     global_buffer
      - .address_space:  global
        .offset:         8
        .size:           8
        .value_kind:     global_buffer
      - .offset:         16
        .size:           4
        .value_kind:     hidden_block_count_x
      - .offset:         20
        .size:           4
        .value_kind:     hidden_block_count_y
      - .offset:         24
        .size:           4
        .value_kind:     hidden_block_count_z
      - .offset:         28
        .size:           2
        .value_kind:     hidden_group_size_x
      - .offset:         30
        .size:           2
        .value_kind:     hidden_group_size_y
      - .offset:         32
        .size:           2
        .value_kind:     hidden_group_size_z
      - .offset:         34
        .size:           2
        .value_kind:     hidden_remainder_x
      - .offset:         36
        .size:           2
        .value_kind:     hidden_remainder_y
      - .offset:         38
        .size:           2
        .value_kind:     hidden_remainder_z
      - .offset:         56
        .size:           8
        .value_kind:     hidden_global_offset_x
      - .offset:         64
        .size:           8
        .value_kind:     hidden_global_offset_y
      - .offset:         72
        .size:           8
        .value_kind:     hidden_global_offset_z
      - .offset:         80
        .size:           2
        .value_kind:     hidden_grid_dims
    .group_segment_fixed_size: 120
    .kernarg_segment_align: 8
    .kernarg_segment_size: 272
    .language:       OpenCL C
    .language_version:
      - 2
      - 0
    .max_flat_workgroup_size: 30
    .name:           _Z18warp_reduce_kernelIfLj30ELj3EENSt9enable_ifIXsr10test_utilsE35device_test_enabled_for_warp_size_vIXT1_EEEvE4typeEPT_S4_
    .private_segment_fixed_size: 0
    .sgpr_count:     12
    .sgpr_spill_count: 0
    .symbol:         _Z18warp_reduce_kernelIfLj30ELj3EENSt9enable_ifIXsr10test_utilsE35device_test_enabled_for_warp_size_vIXT1_EEEvE4typeEPT_S4_.kd
    .uniform_work_group_size: 1
    .uses_dynamic_stack: false
    .vgpr_count:     7
    .vgpr_spill_count: 0
    .wavefront_size: 64
  - .agpr_count:     0
    .args:
      - .address_space:  global
        .offset:         0
        .size:           8
        .value_kind:     global_buffer
      - .address_space:  global
        .offset:         8
        .size:           8
        .value_kind:     global_buffer
      - .offset:         16
        .size:           4
        .value_kind:     hidden_block_count_x
      - .offset:         20
        .size:           4
        .value_kind:     hidden_block_count_y
      - .offset:         24
        .size:           4
        .value_kind:     hidden_block_count_z
      - .offset:         28
        .size:           2
        .value_kind:     hidden_group_size_x
      - .offset:         30
        .size:           2
        .value_kind:     hidden_group_size_y
      - .offset:         32
        .size:           2
        .value_kind:     hidden_group_size_z
      - .offset:         34
        .size:           2
        .value_kind:     hidden_remainder_x
      - .offset:         36
        .size:           2
        .value_kind:     hidden_remainder_y
      - .offset:         38
        .size:           2
        .value_kind:     hidden_remainder_z
      - .offset:         56
        .size:           8
        .value_kind:     hidden_global_offset_x
      - .offset:         64
        .size:           8
        .value_kind:     hidden_global_offset_y
      - .offset:         72
        .size:           8
        .value_kind:     hidden_global_offset_z
      - .offset:         80
        .size:           2
        .value_kind:     hidden_grid_dims
    .group_segment_fixed_size: 252
    .kernarg_segment_align: 8
    .kernarg_segment_size: 272
    .language:       OpenCL C
    .language_version:
      - 2
      - 0
    .max_flat_workgroup_size: 63
    .name:           _Z18warp_reduce_kernelIfLj63ELj3EENSt9enable_ifIXsr10test_utilsE35device_test_enabled_for_warp_size_vIXT1_EEEvE4typeEPT_S4_
    .private_segment_fixed_size: 0
    .sgpr_count:     12
    .sgpr_spill_count: 0
    .symbol:         _Z18warp_reduce_kernelIfLj63ELj3EENSt9enable_ifIXsr10test_utilsE35device_test_enabled_for_warp_size_vIXT1_EEEvE4typeEPT_S4_.kd
    .uniform_work_group_size: 1
    .uses_dynamic_stack: false
    .vgpr_count:     7
    .vgpr_spill_count: 0
    .wavefront_size: 64
  - .agpr_count:     0
    .args:
      - .address_space:  global
        .offset:         0
        .size:           8
        .value_kind:     global_buffer
      - .address_space:  global
        .offset:         8
        .size:           8
        .value_kind:     global_buffer
      - .offset:         16
        .size:           4
        .value_kind:     hidden_block_count_x
      - .offset:         20
        .size:           4
        .value_kind:     hidden_block_count_y
      - .offset:         24
        .size:           4
        .value_kind:     hidden_block_count_z
      - .offset:         28
        .size:           2
        .value_kind:     hidden_group_size_x
      - .offset:         30
        .size:           2
        .value_kind:     hidden_group_size_y
      - .offset:         32
        .size:           2
        .value_kind:     hidden_group_size_z
      - .offset:         34
        .size:           2
        .value_kind:     hidden_remainder_x
      - .offset:         36
        .size:           2
        .value_kind:     hidden_remainder_y
      - .offset:         38
        .size:           2
        .value_kind:     hidden_remainder_z
      - .offset:         56
        .size:           8
        .value_kind:     hidden_global_offset_x
      - .offset:         64
        .size:           8
        .value_kind:     hidden_global_offset_y
      - .offset:         72
        .size:           8
        .value_kind:     hidden_global_offset_z
      - .offset:         80
        .size:           2
        .value_kind:     hidden_grid_dims
    .group_segment_fixed_size: 244
    .kernarg_segment_align: 8
    .kernarg_segment_size: 272
    .language:       OpenCL C
    .language_version:
      - 2
      - 0
    .max_flat_workgroup_size: 1
    .name:           _Z18warp_reduce_kernelIiLj1ELj61EENSt9enable_ifIXsr10test_utilsE35device_test_enabled_for_warp_size_vIXT1_EEEvE4typeEPT_S4_
    .private_segment_fixed_size: 0
    .sgpr_count:     12
    .sgpr_spill_count: 0
    .symbol:         _Z18warp_reduce_kernelIiLj1ELj61EENSt9enable_ifIXsr10test_utilsE35device_test_enabled_for_warp_size_vIXT1_EEEvE4typeEPT_S4_.kd
    .uniform_work_group_size: 1
    .uses_dynamic_stack: false
    .vgpr_count:     4
    .vgpr_spill_count: 0
    .wavefront_size: 64
  - .agpr_count:     0
    .args:
      - .address_space:  global
        .offset:         0
        .size:           8
        .value_kind:     global_buffer
      - .address_space:  global
        .offset:         8
        .size:           8
        .value_kind:     global_buffer
      - .offset:         16
        .size:           4
        .value_kind:     hidden_block_count_x
      - .offset:         20
        .size:           4
        .value_kind:     hidden_block_count_y
      - .offset:         24
        .size:           4
        .value_kind:     hidden_block_count_z
      - .offset:         28
        .size:           2
        .value_kind:     hidden_group_size_x
      - .offset:         30
        .size:           2
        .value_kind:     hidden_group_size_y
      - .offset:         32
        .size:           2
        .value_kind:     hidden_group_size_z
      - .offset:         34
        .size:           2
        .value_kind:     hidden_remainder_x
      - .offset:         36
        .size:           2
        .value_kind:     hidden_remainder_y
      - .offset:         38
        .size:           2
        .value_kind:     hidden_remainder_z
      - .offset:         56
        .size:           8
        .value_kind:     hidden_global_offset_x
      - .offset:         64
        .size:           8
        .value_kind:     hidden_global_offset_y
      - .offset:         72
        .size:           8
        .value_kind:     hidden_global_offset_z
      - .offset:         80
        .size:           2
        .value_kind:     hidden_grid_dims
    .group_segment_fixed_size: 244
    .kernarg_segment_align: 8
    .kernarg_segment_size: 272
    .language:       OpenCL C
    .language_version:
      - 2
      - 0
    .max_flat_workgroup_size: 61
    .name:           _Z18warp_reduce_kernelIiLj61ELj61EENSt9enable_ifIXsr10test_utilsE35device_test_enabled_for_warp_size_vIXT1_EEEvE4typeEPT_S4_
    .private_segment_fixed_size: 0
    .sgpr_count:     12
    .sgpr_spill_count: 0
    .symbol:         _Z18warp_reduce_kernelIiLj61ELj61EENSt9enable_ifIXsr10test_utilsE35device_test_enabled_for_warp_size_vIXT1_EEEvE4typeEPT_S4_.kd
    .uniform_work_group_size: 1
    .uses_dynamic_stack: false
    .vgpr_count:     8
    .vgpr_spill_count: 0
    .wavefront_size: 64
  - .agpr_count:     0
    .args:
      - .address_space:  global
        .offset:         0
        .size:           8
        .value_kind:     global_buffer
      - .address_space:  global
        .offset:         8
        .size:           8
        .value_kind:     global_buffer
      - .offset:         16
        .size:           4
        .value_kind:     hidden_block_count_x
      - .offset:         20
        .size:           4
        .value_kind:     hidden_block_count_y
      - .offset:         24
        .size:           4
        .value_kind:     hidden_block_count_z
      - .offset:         28
        .size:           2
        .value_kind:     hidden_group_size_x
      - .offset:         30
        .size:           2
        .value_kind:     hidden_group_size_y
      - .offset:         32
        .size:           2
        .value_kind:     hidden_group_size_z
      - .offset:         34
        .size:           2
        .value_kind:     hidden_remainder_x
      - .offset:         36
        .size:           2
        .value_kind:     hidden_remainder_y
      - .offset:         38
        .size:           2
        .value_kind:     hidden_remainder_z
      - .offset:         56
        .size:           8
        .value_kind:     hidden_global_offset_x
      - .offset:         64
        .size:           8
        .value_kind:     hidden_global_offset_y
      - .offset:         72
        .size:           8
        .value_kind:     hidden_global_offset_z
      - .offset:         80
        .size:           2
        .value_kind:     hidden_grid_dims
    .group_segment_fixed_size: 148
    .kernarg_segment_align: 8
    .kernarg_segment_size: 272
    .language:       OpenCL C
    .language_version:
      - 2
      - 0
    .max_flat_workgroup_size: 1
    .name:           _Z18warp_reduce_kernelIiLj1ELj37EENSt9enable_ifIXsr10test_utilsE35device_test_enabled_for_warp_size_vIXT1_EEEvE4typeEPT_S4_
    .private_segment_fixed_size: 0
    .sgpr_count:     12
    .sgpr_spill_count: 0
    .symbol:         _Z18warp_reduce_kernelIiLj1ELj37EENSt9enable_ifIXsr10test_utilsE35device_test_enabled_for_warp_size_vIXT1_EEEvE4typeEPT_S4_.kd
    .uniform_work_group_size: 1
    .uses_dynamic_stack: false
    .vgpr_count:     4
    .vgpr_spill_count: 0
    .wavefront_size: 64
  - .agpr_count:     0
    .args:
      - .address_space:  global
        .offset:         0
        .size:           8
        .value_kind:     global_buffer
      - .address_space:  global
        .offset:         8
        .size:           8
        .value_kind:     global_buffer
      - .offset:         16
        .size:           4
        .value_kind:     hidden_block_count_x
      - .offset:         20
        .size:           4
        .value_kind:     hidden_block_count_y
      - .offset:         24
        .size:           4
        .value_kind:     hidden_block_count_z
      - .offset:         28
        .size:           2
        .value_kind:     hidden_group_size_x
      - .offset:         30
        .size:           2
        .value_kind:     hidden_group_size_y
      - .offset:         32
        .size:           2
        .value_kind:     hidden_group_size_z
      - .offset:         34
        .size:           2
        .value_kind:     hidden_remainder_x
      - .offset:         36
        .size:           2
        .value_kind:     hidden_remainder_y
      - .offset:         38
        .size:           2
        .value_kind:     hidden_remainder_z
      - .offset:         56
        .size:           8
        .value_kind:     hidden_global_offset_x
      - .offset:         64
        .size:           8
        .value_kind:     hidden_global_offset_y
      - .offset:         72
        .size:           8
        .value_kind:     hidden_global_offset_z
      - .offset:         80
        .size:           2
        .value_kind:     hidden_grid_dims
    .group_segment_fixed_size: 148
    .kernarg_segment_align: 8
    .kernarg_segment_size: 272
    .language:       OpenCL C
    .language_version:
      - 2
      - 0
    .max_flat_workgroup_size: 37
    .name:           _Z18warp_reduce_kernelIiLj37ELj37EENSt9enable_ifIXsr10test_utilsE35device_test_enabled_for_warp_size_vIXT1_EEEvE4typeEPT_S4_
    .private_segment_fixed_size: 0
    .sgpr_count:     12
    .sgpr_spill_count: 0
    .symbol:         _Z18warp_reduce_kernelIiLj37ELj37EENSt9enable_ifIXsr10test_utilsE35device_test_enabled_for_warp_size_vIXT1_EEEvE4typeEPT_S4_.kd
    .uniform_work_group_size: 1
    .uses_dynamic_stack: false
    .vgpr_count:     8
    .vgpr_spill_count: 0
    .wavefront_size: 64
  - .agpr_count:     0
    .args:
      - .address_space:  global
        .offset:         0
        .size:           8
        .value_kind:     global_buffer
      - .address_space:  global
        .offset:         8
        .size:           8
        .value_kind:     global_buffer
      - .offset:         16
        .size:           4
        .value_kind:     hidden_block_count_x
      - .offset:         20
        .size:           4
        .value_kind:     hidden_block_count_y
      - .offset:         24
        .size:           4
        .value_kind:     hidden_block_count_z
      - .offset:         28
        .size:           2
        .value_kind:     hidden_group_size_x
      - .offset:         30
        .size:           2
        .value_kind:     hidden_group_size_y
      - .offset:         32
        .size:           2
        .value_kind:     hidden_group_size_z
      - .offset:         34
        .size:           2
        .value_kind:     hidden_remainder_x
      - .offset:         36
        .size:           2
        .value_kind:     hidden_remainder_y
      - .offset:         38
        .size:           2
        .value_kind:     hidden_remainder_z
      - .offset:         56
        .size:           8
        .value_kind:     hidden_global_offset_x
      - .offset:         64
        .size:           8
        .value_kind:     hidden_global_offset_y
      - .offset:         72
        .size:           8
        .value_kind:     hidden_global_offset_z
      - .offset:         80
        .size:           2
        .value_kind:     hidden_grid_dims
    .group_segment_fixed_size: 120
    .kernarg_segment_align: 8
    .kernarg_segment_size: 272
    .language:       OpenCL C
    .language_version:
      - 2
      - 0
    .max_flat_workgroup_size: 30
    .name:           _Z18warp_reduce_kernelIiLj30ELj15EENSt9enable_ifIXsr10test_utilsE35device_test_enabled_for_warp_size_vIXT1_EEEvE4typeEPT_S4_
    .private_segment_fixed_size: 0
    .sgpr_count:     12
    .sgpr_spill_count: 0
    .symbol:         _Z18warp_reduce_kernelIiLj30ELj15EENSt9enable_ifIXsr10test_utilsE35device_test_enabled_for_warp_size_vIXT1_EEEvE4typeEPT_S4_.kd
    .uniform_work_group_size: 1
    .uses_dynamic_stack: false
    .vgpr_count:     8
    .vgpr_spill_count: 0
    .wavefront_size: 64
  - .agpr_count:     0
    .args:
      - .address_space:  global
        .offset:         0
        .size:           8
        .value_kind:     global_buffer
      - .address_space:  global
        .offset:         8
        .size:           8
        .value_kind:     global_buffer
      - .offset:         16
        .size:           4
        .value_kind:     hidden_block_count_x
      - .offset:         20
        .size:           4
        .value_kind:     hidden_block_count_y
      - .offset:         24
        .size:           4
        .value_kind:     hidden_block_count_z
      - .offset:         28
        .size:           2
        .value_kind:     hidden_group_size_x
      - .offset:         30
        .size:           2
        .value_kind:     hidden_group_size_y
      - .offset:         32
        .size:           2
        .value_kind:     hidden_group_size_z
      - .offset:         34
        .size:           2
        .value_kind:     hidden_remainder_x
      - .offset:         36
        .size:           2
        .value_kind:     hidden_remainder_y
      - .offset:         38
        .size:           2
        .value_kind:     hidden_remainder_z
      - .offset:         56
        .size:           8
        .value_kind:     hidden_global_offset_x
      - .offset:         64
        .size:           8
        .value_kind:     hidden_global_offset_y
      - .offset:         72
        .size:           8
        .value_kind:     hidden_global_offset_z
      - .offset:         80
        .size:           2
        .value_kind:     hidden_grid_dims
    .group_segment_fixed_size: 240
    .kernarg_segment_align: 8
    .kernarg_segment_size: 272
    .language:       OpenCL C
    .language_version:
      - 2
      - 0
    .max_flat_workgroup_size: 60
    .name:           _Z18warp_reduce_kernelIiLj60ELj15EENSt9enable_ifIXsr10test_utilsE35device_test_enabled_for_warp_size_vIXT1_EEEvE4typeEPT_S4_
    .private_segment_fixed_size: 0
    .sgpr_count:     12
    .sgpr_spill_count: 0
    .symbol:         _Z18warp_reduce_kernelIiLj60ELj15EENSt9enable_ifIXsr10test_utilsE35device_test_enabled_for_warp_size_vIXT1_EEEvE4typeEPT_S4_.kd
    .uniform_work_group_size: 1
    .uses_dynamic_stack: false
    .vgpr_count:     8
    .vgpr_spill_count: 0
    .wavefront_size: 64
  - .agpr_count:     0
    .args:
      - .address_space:  global
        .offset:         0
        .size:           8
        .value_kind:     global_buffer
      - .address_space:  global
        .offset:         8
        .size:           8
        .value_kind:     global_buffer
      - .offset:         16
        .size:           4
        .value_kind:     hidden_block_count_x
      - .offset:         20
        .size:           4
        .value_kind:     hidden_block_count_y
      - .offset:         24
        .size:           4
        .value_kind:     hidden_block_count_z
      - .offset:         28
        .size:           2
        .value_kind:     hidden_group_size_x
      - .offset:         30
        .size:           2
        .value_kind:     hidden_group_size_y
      - .offset:         32
        .size:           2
        .value_kind:     hidden_group_size_z
      - .offset:         34
        .size:           2
        .value_kind:     hidden_remainder_x
      - .offset:         36
        .size:           2
        .value_kind:     hidden_remainder_y
      - .offset:         38
        .size:           2
        .value_kind:     hidden_remainder_z
      - .offset:         56
        .size:           8
        .value_kind:     hidden_global_offset_x
      - .offset:         64
        .size:           8
        .value_kind:     hidden_global_offset_y
      - .offset:         72
        .size:           8
        .value_kind:     hidden_global_offset_z
      - .offset:         80
        .size:           2
        .value_kind:     hidden_grid_dims
    .group_segment_fixed_size: 112
    .kernarg_segment_align: 8
    .kernarg_segment_size: 272
    .language:       OpenCL C
    .language_version:
      - 2
      - 0
    .max_flat_workgroup_size: 28
    .name:           _Z18warp_reduce_kernelIiLj28ELj7EENSt9enable_ifIXsr10test_utilsE35device_test_enabled_for_warp_size_vIXT1_EEEvE4typeEPT_S4_
    .private_segment_fixed_size: 0
    .sgpr_count:     12
    .sgpr_spill_count: 0
    .symbol:         _Z18warp_reduce_kernelIiLj28ELj7EENSt9enable_ifIXsr10test_utilsE35device_test_enabled_for_warp_size_vIXT1_EEEvE4typeEPT_S4_.kd
    .uniform_work_group_size: 1
    .uses_dynamic_stack: false
    .vgpr_count:     8
    .vgpr_spill_count: 0
    .wavefront_size: 64
  - .agpr_count:     0
    .args:
      - .address_space:  global
        .offset:         0
        .size:           8
        .value_kind:     global_buffer
      - .address_space:  global
        .offset:         8
        .size:           8
        .value_kind:     global_buffer
      - .offset:         16
        .size:           4
        .value_kind:     hidden_block_count_x
      - .offset:         20
        .size:           4
        .value_kind:     hidden_block_count_y
      - .offset:         24
        .size:           4
        .value_kind:     hidden_block_count_z
      - .offset:         28
        .size:           2
        .value_kind:     hidden_group_size_x
      - .offset:         30
        .size:           2
        .value_kind:     hidden_group_size_y
      - .offset:         32
        .size:           2
        .value_kind:     hidden_group_size_z
      - .offset:         34
        .size:           2
        .value_kind:     hidden_remainder_x
      - .offset:         36
        .size:           2
        .value_kind:     hidden_remainder_y
      - .offset:         38
        .size:           2
        .value_kind:     hidden_remainder_z
      - .offset:         56
        .size:           8
        .value_kind:     hidden_global_offset_x
      - .offset:         64
        .size:           8
        .value_kind:     hidden_global_offset_y
      - .offset:         72
        .size:           8
        .value_kind:     hidden_global_offset_z
      - .offset:         80
        .size:           2
        .value_kind:     hidden_grid_dims
    .group_segment_fixed_size: 252
    .kernarg_segment_align: 8
    .kernarg_segment_size: 272
    .language:       OpenCL C
    .language_version:
      - 2
      - 0
    .max_flat_workgroup_size: 63
    .name:           _Z18warp_reduce_kernelIiLj63ELj7EENSt9enable_ifIXsr10test_utilsE35device_test_enabled_for_warp_size_vIXT1_EEEvE4typeEPT_S4_
    .private_segment_fixed_size: 0
    .sgpr_count:     12
    .sgpr_spill_count: 0
    .symbol:         _Z18warp_reduce_kernelIiLj63ELj7EENSt9enable_ifIXsr10test_utilsE35device_test_enabled_for_warp_size_vIXT1_EEEvE4typeEPT_S4_.kd
    .uniform_work_group_size: 1
    .uses_dynamic_stack: false
    .vgpr_count:     8
    .vgpr_spill_count: 0
    .wavefront_size: 64
  - .agpr_count:     0
    .args:
      - .address_space:  global
        .offset:         0
        .size:           8
        .value_kind:     global_buffer
      - .address_space:  global
        .offset:         8
        .size:           8
        .value_kind:     global_buffer
      - .offset:         16
        .size:           4
        .value_kind:     hidden_block_count_x
      - .offset:         20
        .size:           4
        .value_kind:     hidden_block_count_y
      - .offset:         24
        .size:           4
        .value_kind:     hidden_block_count_z
      - .offset:         28
        .size:           2
        .value_kind:     hidden_group_size_x
      - .offset:         30
        .size:           2
        .value_kind:     hidden_group_size_y
      - .offset:         32
        .size:           2
        .value_kind:     hidden_group_size_z
      - .offset:         34
        .size:           2
        .value_kind:     hidden_remainder_x
      - .offset:         36
        .size:           2
        .value_kind:     hidden_remainder_y
      - .offset:         38
        .size:           2
        .value_kind:     hidden_remainder_z
      - .offset:         56
        .size:           8
        .value_kind:     hidden_global_offset_x
      - .offset:         64
        .size:           8
        .value_kind:     hidden_global_offset_y
      - .offset:         72
        .size:           8
        .value_kind:     hidden_global_offset_z
      - .offset:         80
        .size:           2
        .value_kind:     hidden_grid_dims
    .group_segment_fixed_size: 120
    .kernarg_segment_align: 8
    .kernarg_segment_size: 272
    .language:       OpenCL C
    .language_version:
      - 2
      - 0
    .max_flat_workgroup_size: 30
    .name:           _Z18warp_reduce_kernelIiLj30ELj3EENSt9enable_ifIXsr10test_utilsE35device_test_enabled_for_warp_size_vIXT1_EEEvE4typeEPT_S4_
    .private_segment_fixed_size: 0
    .sgpr_count:     12
    .sgpr_spill_count: 0
    .symbol:         _Z18warp_reduce_kernelIiLj30ELj3EENSt9enable_ifIXsr10test_utilsE35device_test_enabled_for_warp_size_vIXT1_EEEvE4typeEPT_S4_.kd
    .uniform_work_group_size: 1
    .uses_dynamic_stack: false
    .vgpr_count:     7
    .vgpr_spill_count: 0
    .wavefront_size: 64
  - .agpr_count:     0
    .args:
      - .address_space:  global
        .offset:         0
        .size:           8
        .value_kind:     global_buffer
      - .address_space:  global
        .offset:         8
        .size:           8
        .value_kind:     global_buffer
      - .offset:         16
        .size:           4
        .value_kind:     hidden_block_count_x
      - .offset:         20
        .size:           4
        .value_kind:     hidden_block_count_y
      - .offset:         24
        .size:           4
        .value_kind:     hidden_block_count_z
      - .offset:         28
        .size:           2
        .value_kind:     hidden_group_size_x
      - .offset:         30
        .size:           2
        .value_kind:     hidden_group_size_y
      - .offset:         32
        .size:           2
        .value_kind:     hidden_group_size_z
      - .offset:         34
        .size:           2
        .value_kind:     hidden_remainder_x
      - .offset:         36
        .size:           2
        .value_kind:     hidden_remainder_y
      - .offset:         38
        .size:           2
        .value_kind:     hidden_remainder_z
      - .offset:         56
        .size:           8
        .value_kind:     hidden_global_offset_x
      - .offset:         64
        .size:           8
        .value_kind:     hidden_global_offset_y
      - .offset:         72
        .size:           8
        .value_kind:     hidden_global_offset_z
      - .offset:         80
        .size:           2
        .value_kind:     hidden_grid_dims
    .group_segment_fixed_size: 252
    .kernarg_segment_align: 8
    .kernarg_segment_size: 272
    .language:       OpenCL C
    .language_version:
      - 2
      - 0
    .max_flat_workgroup_size: 63
    .name:           _Z18warp_reduce_kernelIiLj63ELj3EENSt9enable_ifIXsr10test_utilsE35device_test_enabled_for_warp_size_vIXT1_EEEvE4typeEPT_S4_
    .private_segment_fixed_size: 0
    .sgpr_count:     12
    .sgpr_spill_count: 0
    .symbol:         _Z18warp_reduce_kernelIiLj63ELj3EENSt9enable_ifIXsr10test_utilsE35device_test_enabled_for_warp_size_vIXT1_EEEvE4typeEPT_S4_.kd
    .uniform_work_group_size: 1
    .uses_dynamic_stack: false
    .vgpr_count:     7
    .vgpr_spill_count: 0
    .wavefront_size: 64
  - .agpr_count:     0
    .args:
      - .address_space:  global
        .offset:         0
        .size:           8
        .value_kind:     global_buffer
      - .address_space:  global
        .offset:         8
        .size:           8
        .value_kind:     global_buffer
      - .offset:         16
        .size:           4
        .value_kind:     hidden_block_count_x
      - .offset:         20
        .size:           4
        .value_kind:     hidden_block_count_y
      - .offset:         24
        .size:           4
        .value_kind:     hidden_block_count_z
      - .offset:         28
        .size:           2
        .value_kind:     hidden_group_size_x
      - .offset:         30
        .size:           2
        .value_kind:     hidden_group_size_y
      - .offset:         32
        .size:           2
        .value_kind:     hidden_group_size_z
      - .offset:         34
        .size:           2
        .value_kind:     hidden_remainder_x
      - .offset:         36
        .size:           2
        .value_kind:     hidden_remainder_y
      - .offset:         38
        .size:           2
        .value_kind:     hidden_remainder_z
      - .offset:         56
        .size:           8
        .value_kind:     hidden_global_offset_x
      - .offset:         64
        .size:           8
        .value_kind:     hidden_global_offset_y
      - .offset:         72
        .size:           8
        .value_kind:     hidden_global_offset_z
      - .offset:         80
        .size:           2
        .value_kind:     hidden_grid_dims
    .group_segment_fixed_size: 0
    .kernarg_segment_align: 8
    .kernarg_segment_size: 272
    .language:       OpenCL C
    .language_version:
      - 2
      - 0
    .max_flat_workgroup_size: 256
    .name:           _Z18warp_reduce_kernelI12hip_bfloat16Lj256ELj64EENSt9enable_ifIXsr10test_utilsE35device_test_enabled_for_warp_size_vIXT1_EEEvE4typeEPT_S5_
    .private_segment_fixed_size: 0
    .sgpr_count:     12
    .sgpr_spill_count: 0
    .symbol:         _Z18warp_reduce_kernelI12hip_bfloat16Lj256ELj64EENSt9enable_ifIXsr10test_utilsE35device_test_enabled_for_warp_size_vIXT1_EEEvE4typeEPT_S5_.kd
    .uniform_work_group_size: 1
    .uses_dynamic_stack: false
    .vgpr_count:     8
    .vgpr_spill_count: 0
    .wavefront_size: 64
  - .agpr_count:     0
    .args:
      - .address_space:  global
        .offset:         0
        .size:           8
        .value_kind:     global_buffer
      - .address_space:  global
        .offset:         8
        .size:           8
        .value_kind:     global_buffer
      - .offset:         16
        .size:           4
        .value_kind:     hidden_block_count_x
      - .offset:         20
        .size:           4
        .value_kind:     hidden_block_count_y
      - .offset:         24
        .size:           4
        .value_kind:     hidden_block_count_z
      - .offset:         28
        .size:           2
        .value_kind:     hidden_group_size_x
      - .offset:         30
        .size:           2
        .value_kind:     hidden_group_size_y
      - .offset:         32
        .size:           2
        .value_kind:     hidden_group_size_z
      - .offset:         34
        .size:           2
        .value_kind:     hidden_remainder_x
      - .offset:         36
        .size:           2
        .value_kind:     hidden_remainder_y
      - .offset:         38
        .size:           2
        .value_kind:     hidden_remainder_z
      - .offset:         56
        .size:           8
        .value_kind:     hidden_global_offset_x
      - .offset:         64
        .size:           8
        .value_kind:     hidden_global_offset_y
      - .offset:         72
        .size:           8
        .value_kind:     hidden_global_offset_z
      - .offset:         80
        .size:           2
        .value_kind:     hidden_grid_dims
    .group_segment_fixed_size: 0
    .kernarg_segment_align: 8
    .kernarg_segment_size: 272
    .language:       OpenCL C
    .language_version:
      - 2
      - 0
    .max_flat_workgroup_size: 128
    .name:           _Z18warp_reduce_kernelI12hip_bfloat16Lj128ELj32EENSt9enable_ifIXsr10test_utilsE35device_test_enabled_for_warp_size_vIXT1_EEEvE4typeEPT_S5_
    .private_segment_fixed_size: 0
    .sgpr_count:     12
    .sgpr_spill_count: 0
    .symbol:         _Z18warp_reduce_kernelI12hip_bfloat16Lj128ELj32EENSt9enable_ifIXsr10test_utilsE35device_test_enabled_for_warp_size_vIXT1_EEEvE4typeEPT_S5_.kd
    .uniform_work_group_size: 1
    .uses_dynamic_stack: false
    .vgpr_count:     8
    .vgpr_spill_count: 0
    .wavefront_size: 64
  - .agpr_count:     0
    .args:
      - .address_space:  global
        .offset:         0
        .size:           8
        .value_kind:     global_buffer
      - .address_space:  global
        .offset:         8
        .size:           8
        .value_kind:     global_buffer
      - .offset:         16
        .size:           4
        .value_kind:     hidden_block_count_x
      - .offset:         20
        .size:           4
        .value_kind:     hidden_block_count_y
      - .offset:         24
        .size:           4
        .value_kind:     hidden_block_count_z
      - .offset:         28
        .size:           2
        .value_kind:     hidden_group_size_x
      - .offset:         30
        .size:           2
        .value_kind:     hidden_group_size_y
      - .offset:         32
        .size:           2
        .value_kind:     hidden_group_size_z
      - .offset:         34
        .size:           2
        .value_kind:     hidden_remainder_x
      - .offset:         36
        .size:           2
        .value_kind:     hidden_remainder_y
      - .offset:         38
        .size:           2
        .value_kind:     hidden_remainder_z
      - .offset:         56
        .size:           8
        .value_kind:     hidden_global_offset_x
      - .offset:         64
        .size:           8
        .value_kind:     hidden_global_offset_y
      - .offset:         72
        .size:           8
        .value_kind:     hidden_global_offset_z
      - .offset:         80
        .size:           2
        .value_kind:     hidden_grid_dims
    .group_segment_fixed_size: 0
    .kernarg_segment_align: 8
    .kernarg_segment_size: 272
    .language:       OpenCL C
    .language_version:
      - 2
      - 0
    .max_flat_workgroup_size: 64
    .name:           _Z18warp_reduce_kernelI12hip_bfloat16Lj64ELj16EENSt9enable_ifIXsr10test_utilsE35device_test_enabled_for_warp_size_vIXT1_EEEvE4typeEPT_S5_
    .private_segment_fixed_size: 0
    .sgpr_count:     12
    .sgpr_spill_count: 0
    .symbol:         _Z18warp_reduce_kernelI12hip_bfloat16Lj64ELj16EENSt9enable_ifIXsr10test_utilsE35device_test_enabled_for_warp_size_vIXT1_EEEvE4typeEPT_S5_.kd
    .uniform_work_group_size: 1
    .uses_dynamic_stack: false
    .vgpr_count:     8
    .vgpr_spill_count: 0
    .wavefront_size: 64
  - .agpr_count:     0
    .args:
      - .address_space:  global
        .offset:         0
        .size:           8
        .value_kind:     global_buffer
      - .address_space:  global
        .offset:         8
        .size:           8
        .value_kind:     global_buffer
      - .offset:         16
        .size:           4
        .value_kind:     hidden_block_count_x
      - .offset:         20
        .size:           4
        .value_kind:     hidden_block_count_y
      - .offset:         24
        .size:           4
        .value_kind:     hidden_block_count_z
      - .offset:         28
        .size:           2
        .value_kind:     hidden_group_size_x
      - .offset:         30
        .size:           2
        .value_kind:     hidden_group_size_y
      - .offset:         32
        .size:           2
        .value_kind:     hidden_group_size_z
      - .offset:         34
        .size:           2
        .value_kind:     hidden_remainder_x
      - .offset:         36
        .size:           2
        .value_kind:     hidden_remainder_y
      - .offset:         38
        .size:           2
        .value_kind:     hidden_remainder_z
      - .offset:         56
        .size:           8
        .value_kind:     hidden_global_offset_x
      - .offset:         64
        .size:           8
        .value_kind:     hidden_global_offset_y
      - .offset:         72
        .size:           8
        .value_kind:     hidden_global_offset_z
      - .offset:         80
        .size:           2
        .value_kind:     hidden_grid_dims
    .group_segment_fixed_size: 0
    .kernarg_segment_align: 8
    .kernarg_segment_size: 272
    .language:       OpenCL C
    .language_version:
      - 2
      - 0
    .max_flat_workgroup_size: 32
    .name:           _Z18warp_reduce_kernelI12hip_bfloat16Lj32ELj8EENSt9enable_ifIXsr10test_utilsE35device_test_enabled_for_warp_size_vIXT1_EEEvE4typeEPT_S5_
    .private_segment_fixed_size: 0
    .sgpr_count:     12
    .sgpr_spill_count: 0
    .symbol:         _Z18warp_reduce_kernelI12hip_bfloat16Lj32ELj8EENSt9enable_ifIXsr10test_utilsE35device_test_enabled_for_warp_size_vIXT1_EEEvE4typeEPT_S5_.kd
    .uniform_work_group_size: 1
    .uses_dynamic_stack: false
    .vgpr_count:     8
    .vgpr_spill_count: 0
    .wavefront_size: 64
  - .agpr_count:     0
    .args:
      - .address_space:  global
        .offset:         0
        .size:           8
        .value_kind:     global_buffer
      - .address_space:  global
        .offset:         8
        .size:           8
        .value_kind:     global_buffer
      - .offset:         16
        .size:           4
        .value_kind:     hidden_block_count_x
      - .offset:         20
        .size:           4
        .value_kind:     hidden_block_count_y
      - .offset:         24
        .size:           4
        .value_kind:     hidden_block_count_z
      - .offset:         28
        .size:           2
        .value_kind:     hidden_group_size_x
      - .offset:         30
        .size:           2
        .value_kind:     hidden_group_size_y
      - .offset:         32
        .size:           2
        .value_kind:     hidden_group_size_z
      - .offset:         34
        .size:           2
        .value_kind:     hidden_remainder_x
      - .offset:         36
        .size:           2
        .value_kind:     hidden_remainder_y
      - .offset:         38
        .size:           2
        .value_kind:     hidden_remainder_z
      - .offset:         56
        .size:           8
        .value_kind:     hidden_global_offset_x
      - .offset:         64
        .size:           8
        .value_kind:     hidden_global_offset_y
      - .offset:         72
        .size:           8
        .value_kind:     hidden_global_offset_z
      - .offset:         80
        .size:           2
        .value_kind:     hidden_grid_dims
    .group_segment_fixed_size: 0
    .kernarg_segment_align: 8
    .kernarg_segment_size: 272
    .language:       OpenCL C
    .language_version:
      - 2
      - 0
    .max_flat_workgroup_size: 64
    .name:           _Z18warp_reduce_kernelI12hip_bfloat16Lj64ELj8EENSt9enable_ifIXsr10test_utilsE35device_test_enabled_for_warp_size_vIXT1_EEEvE4typeEPT_S5_
    .private_segment_fixed_size: 0
    .sgpr_count:     12
    .sgpr_spill_count: 0
    .symbol:         _Z18warp_reduce_kernelI12hip_bfloat16Lj64ELj8EENSt9enable_ifIXsr10test_utilsE35device_test_enabled_for_warp_size_vIXT1_EEEvE4typeEPT_S5_.kd
    .uniform_work_group_size: 1
    .uses_dynamic_stack: false
    .vgpr_count:     8
    .vgpr_spill_count: 0
    .wavefront_size: 64
  - .agpr_count:     0
    .args:
      - .address_space:  global
        .offset:         0
        .size:           8
        .value_kind:     global_buffer
      - .address_space:  global
        .offset:         8
        .size:           8
        .value_kind:     global_buffer
      - .offset:         16
        .size:           4
        .value_kind:     hidden_block_count_x
      - .offset:         20
        .size:           4
        .value_kind:     hidden_block_count_y
      - .offset:         24
        .size:           4
        .value_kind:     hidden_block_count_z
      - .offset:         28
        .size:           2
        .value_kind:     hidden_group_size_x
      - .offset:         30
        .size:           2
        .value_kind:     hidden_group_size_y
      - .offset:         32
        .size:           2
        .value_kind:     hidden_group_size_z
      - .offset:         34
        .size:           2
        .value_kind:     hidden_remainder_x
      - .offset:         36
        .size:           2
        .value_kind:     hidden_remainder_y
      - .offset:         38
        .size:           2
        .value_kind:     hidden_remainder_z
      - .offset:         56
        .size:           8
        .value_kind:     hidden_global_offset_x
      - .offset:         64
        .size:           8
        .value_kind:     hidden_global_offset_y
      - .offset:         72
        .size:           8
        .value_kind:     hidden_global_offset_z
      - .offset:         80
        .size:           2
        .value_kind:     hidden_grid_dims
    .group_segment_fixed_size: 0
    .kernarg_segment_align: 8
    .kernarg_segment_size: 272
    .language:       OpenCL C
    .language_version:
      - 2
      - 0
    .max_flat_workgroup_size: 32
    .name:           _Z18warp_reduce_kernelI12hip_bfloat16Lj32ELj4EENSt9enable_ifIXsr10test_utilsE35device_test_enabled_for_warp_size_vIXT1_EEEvE4typeEPT_S5_
    .private_segment_fixed_size: 0
    .sgpr_count:     12
    .sgpr_spill_count: 0
    .symbol:         _Z18warp_reduce_kernelI12hip_bfloat16Lj32ELj4EENSt9enable_ifIXsr10test_utilsE35device_test_enabled_for_warp_size_vIXT1_EEEvE4typeEPT_S5_.kd
    .uniform_work_group_size: 1
    .uses_dynamic_stack: false
    .vgpr_count:     8
    .vgpr_spill_count: 0
    .wavefront_size: 64
  - .agpr_count:     0
    .args:
      - .address_space:  global
        .offset:         0
        .size:           8
        .value_kind:     global_buffer
      - .address_space:  global
        .offset:         8
        .size:           8
        .value_kind:     global_buffer
      - .offset:         16
        .size:           4
        .value_kind:     hidden_block_count_x
      - .offset:         20
        .size:           4
        .value_kind:     hidden_block_count_y
      - .offset:         24
        .size:           4
        .value_kind:     hidden_block_count_z
      - .offset:         28
        .size:           2
        .value_kind:     hidden_group_size_x
      - .offset:         30
        .size:           2
        .value_kind:     hidden_group_size_y
      - .offset:         32
        .size:           2
        .value_kind:     hidden_group_size_z
      - .offset:         34
        .size:           2
        .value_kind:     hidden_remainder_x
      - .offset:         36
        .size:           2
        .value_kind:     hidden_remainder_y
      - .offset:         38
        .size:           2
        .value_kind:     hidden_remainder_z
      - .offset:         56
        .size:           8
        .value_kind:     hidden_global_offset_x
      - .offset:         64
        .size:           8
        .value_kind:     hidden_global_offset_y
      - .offset:         72
        .size:           8
        .value_kind:     hidden_global_offset_z
      - .offset:         80
        .size:           2
        .value_kind:     hidden_grid_dims
    .group_segment_fixed_size: 0
    .kernarg_segment_align: 8
    .kernarg_segment_size: 272
    .language:       OpenCL C
    .language_version:
      - 2
      - 0
    .max_flat_workgroup_size: 64
    .name:           _Z18warp_reduce_kernelI12hip_bfloat16Lj64ELj4EENSt9enable_ifIXsr10test_utilsE35device_test_enabled_for_warp_size_vIXT1_EEEvE4typeEPT_S5_
    .private_segment_fixed_size: 0
    .sgpr_count:     12
    .sgpr_spill_count: 0
    .symbol:         _Z18warp_reduce_kernelI12hip_bfloat16Lj64ELj4EENSt9enable_ifIXsr10test_utilsE35device_test_enabled_for_warp_size_vIXT1_EEEvE4typeEPT_S5_.kd
    .uniform_work_group_size: 1
    .uses_dynamic_stack: false
    .vgpr_count:     8
    .vgpr_spill_count: 0
    .wavefront_size: 64
  - .agpr_count:     0
    .args:
      - .address_space:  global
        .offset:         0
        .size:           8
        .value_kind:     global_buffer
      - .address_space:  global
        .offset:         8
        .size:           8
        .value_kind:     global_buffer
      - .offset:         16
        .size:           4
        .value_kind:     hidden_block_count_x
      - .offset:         20
        .size:           4
        .value_kind:     hidden_block_count_y
      - .offset:         24
        .size:           4
        .value_kind:     hidden_block_count_z
      - .offset:         28
        .size:           2
        .value_kind:     hidden_group_size_x
      - .offset:         30
        .size:           2
        .value_kind:     hidden_group_size_y
      - .offset:         32
        .size:           2
        .value_kind:     hidden_group_size_z
      - .offset:         34
        .size:           2
        .value_kind:     hidden_remainder_x
      - .offset:         36
        .size:           2
        .value_kind:     hidden_remainder_y
      - .offset:         38
        .size:           2
        .value_kind:     hidden_remainder_z
      - .offset:         56
        .size:           8
        .value_kind:     hidden_global_offset_x
      - .offset:         64
        .size:           8
        .value_kind:     hidden_global_offset_y
      - .offset:         72
        .size:           8
        .value_kind:     hidden_global_offset_z
      - .offset:         80
        .size:           2
        .value_kind:     hidden_grid_dims
    .group_segment_fixed_size: 0
    .kernarg_segment_align: 8
    .kernarg_segment_size: 272
    .language:       OpenCL C
    .language_version:
      - 2
      - 0
    .max_flat_workgroup_size: 32
    .name:           _Z18warp_reduce_kernelI12hip_bfloat16Lj32ELj2EENSt9enable_ifIXsr10test_utilsE35device_test_enabled_for_warp_size_vIXT1_EEEvE4typeEPT_S5_
    .private_segment_fixed_size: 0
    .sgpr_count:     12
    .sgpr_spill_count: 0
    .symbol:         _Z18warp_reduce_kernelI12hip_bfloat16Lj32ELj2EENSt9enable_ifIXsr10test_utilsE35device_test_enabled_for_warp_size_vIXT1_EEEvE4typeEPT_S5_.kd
    .uniform_work_group_size: 1
    .uses_dynamic_stack: false
    .vgpr_count:     8
    .vgpr_spill_count: 0
    .wavefront_size: 64
  - .agpr_count:     0
    .args:
      - .address_space:  global
        .offset:         0
        .size:           8
        .value_kind:     global_buffer
      - .address_space:  global
        .offset:         8
        .size:           8
        .value_kind:     global_buffer
      - .offset:         16
        .size:           4
        .value_kind:     hidden_block_count_x
      - .offset:         20
        .size:           4
        .value_kind:     hidden_block_count_y
      - .offset:         24
        .size:           4
        .value_kind:     hidden_block_count_z
      - .offset:         28
        .size:           2
        .value_kind:     hidden_group_size_x
      - .offset:         30
        .size:           2
        .value_kind:     hidden_group_size_y
      - .offset:         32
        .size:           2
        .value_kind:     hidden_group_size_z
      - .offset:         34
        .size:           2
        .value_kind:     hidden_remainder_x
      - .offset:         36
        .size:           2
        .value_kind:     hidden_remainder_y
      - .offset:         38
        .size:           2
        .value_kind:     hidden_remainder_z
      - .offset:         56
        .size:           8
        .value_kind:     hidden_global_offset_x
      - .offset:         64
        .size:           8
        .value_kind:     hidden_global_offset_y
      - .offset:         72
        .size:           8
        .value_kind:     hidden_global_offset_z
      - .offset:         80
        .size:           2
        .value_kind:     hidden_grid_dims
    .group_segment_fixed_size: 0
    .kernarg_segment_align: 8
    .kernarg_segment_size: 272
    .language:       OpenCL C
    .language_version:
      - 2
      - 0
    .max_flat_workgroup_size: 64
    .name:           _Z18warp_reduce_kernelI12hip_bfloat16Lj64ELj2EENSt9enable_ifIXsr10test_utilsE35device_test_enabled_for_warp_size_vIXT1_EEEvE4typeEPT_S5_
    .private_segment_fixed_size: 0
    .sgpr_count:     12
    .sgpr_spill_count: 0
    .symbol:         _Z18warp_reduce_kernelI12hip_bfloat16Lj64ELj2EENSt9enable_ifIXsr10test_utilsE35device_test_enabled_for_warp_size_vIXT1_EEEvE4typeEPT_S5_.kd
    .uniform_work_group_size: 1
    .uses_dynamic_stack: false
    .vgpr_count:     8
    .vgpr_spill_count: 0
    .wavefront_size: 64
  - .agpr_count:     0
    .args:
      - .address_space:  global
        .offset:         0
        .size:           8
        .value_kind:     global_buffer
      - .address_space:  global
        .offset:         8
        .size:           8
        .value_kind:     global_buffer
      - .offset:         16
        .size:           4
        .value_kind:     hidden_block_count_x
      - .offset:         20
        .size:           4
        .value_kind:     hidden_block_count_y
      - .offset:         24
        .size:           4
        .value_kind:     hidden_block_count_z
      - .offset:         28
        .size:           2
        .value_kind:     hidden_group_size_x
      - .offset:         30
        .size:           2
        .value_kind:     hidden_group_size_y
      - .offset:         32
        .size:           2
        .value_kind:     hidden_group_size_z
      - .offset:         34
        .size:           2
        .value_kind:     hidden_remainder_x
      - .offset:         36
        .size:           2
        .value_kind:     hidden_remainder_y
      - .offset:         38
        .size:           2
        .value_kind:     hidden_remainder_z
      - .offset:         56
        .size:           8
        .value_kind:     hidden_global_offset_x
      - .offset:         64
        .size:           8
        .value_kind:     hidden_global_offset_y
      - .offset:         72
        .size:           8
        .value_kind:     hidden_global_offset_z
      - .offset:         80
        .size:           2
        .value_kind:     hidden_grid_dims
    .group_segment_fixed_size: 0
    .kernarg_segment_align: 8
    .kernarg_segment_size: 272
    .language:       OpenCL C
    .language_version:
      - 2
      - 0
    .max_flat_workgroup_size: 32
    .name:           _Z18warp_reduce_kernelI12hip_bfloat16Lj32ELj1EENSt9enable_ifIXsr10test_utilsE35device_test_enabled_for_warp_size_vIXT1_EEEvE4typeEPT_S5_
    .private_segment_fixed_size: 0
    .sgpr_count:     12
    .sgpr_spill_count: 0
    .symbol:         _Z18warp_reduce_kernelI12hip_bfloat16Lj32ELj1EENSt9enable_ifIXsr10test_utilsE35device_test_enabled_for_warp_size_vIXT1_EEEvE4typeEPT_S5_.kd
    .uniform_work_group_size: 1
    .uses_dynamic_stack: false
    .vgpr_count:     4
    .vgpr_spill_count: 0
    .wavefront_size: 64
  - .agpr_count:     0
    .args:
      - .address_space:  global
        .offset:         0
        .size:           8
        .value_kind:     global_buffer
      - .address_space:  global
        .offset:         8
        .size:           8
        .value_kind:     global_buffer
      - .offset:         16
        .size:           4
        .value_kind:     hidden_block_count_x
      - .offset:         20
        .size:           4
        .value_kind:     hidden_block_count_y
      - .offset:         24
        .size:           4
        .value_kind:     hidden_block_count_z
      - .offset:         28
        .size:           2
        .value_kind:     hidden_group_size_x
      - .offset:         30
        .size:           2
        .value_kind:     hidden_group_size_y
      - .offset:         32
        .size:           2
        .value_kind:     hidden_group_size_z
      - .offset:         34
        .size:           2
        .value_kind:     hidden_remainder_x
      - .offset:         36
        .size:           2
        .value_kind:     hidden_remainder_y
      - .offset:         38
        .size:           2
        .value_kind:     hidden_remainder_z
      - .offset:         56
        .size:           8
        .value_kind:     hidden_global_offset_x
      - .offset:         64
        .size:           8
        .value_kind:     hidden_global_offset_y
      - .offset:         72
        .size:           8
        .value_kind:     hidden_global_offset_z
      - .offset:         80
        .size:           2
        .value_kind:     hidden_grid_dims
    .group_segment_fixed_size: 0
    .kernarg_segment_align: 8
    .kernarg_segment_size: 272
    .language:       OpenCL C
    .language_version:
      - 2
      - 0
    .max_flat_workgroup_size: 64
    .name:           _Z18warp_reduce_kernelI12hip_bfloat16Lj64ELj1EENSt9enable_ifIXsr10test_utilsE35device_test_enabled_for_warp_size_vIXT1_EEEvE4typeEPT_S5_
    .private_segment_fixed_size: 0
    .sgpr_count:     12
    .sgpr_spill_count: 0
    .symbol:         _Z18warp_reduce_kernelI12hip_bfloat16Lj64ELj1EENSt9enable_ifIXsr10test_utilsE35device_test_enabled_for_warp_size_vIXT1_EEEvE4typeEPT_S5_.kd
    .uniform_work_group_size: 1
    .uses_dynamic_stack: false
    .vgpr_count:     4
    .vgpr_spill_count: 0
    .wavefront_size: 64
  - .agpr_count:     0
    .args:
      - .address_space:  global
        .offset:         0
        .size:           8
        .value_kind:     global_buffer
      - .address_space:  global
        .offset:         8
        .size:           8
        .value_kind:     global_buffer
      - .offset:         16
        .size:           4
        .value_kind:     hidden_block_count_x
      - .offset:         20
        .size:           4
        .value_kind:     hidden_block_count_y
      - .offset:         24
        .size:           4
        .value_kind:     hidden_block_count_z
      - .offset:         28
        .size:           2
        .value_kind:     hidden_group_size_x
      - .offset:         30
        .size:           2
        .value_kind:     hidden_group_size_y
      - .offset:         32
        .size:           2
        .value_kind:     hidden_group_size_z
      - .offset:         34
        .size:           2
        .value_kind:     hidden_remainder_x
      - .offset:         36
        .size:           2
        .value_kind:     hidden_remainder_y
      - .offset:         38
        .size:           2
        .value_kind:     hidden_remainder_z
      - .offset:         56
        .size:           8
        .value_kind:     hidden_global_offset_x
      - .offset:         64
        .size:           8
        .value_kind:     hidden_global_offset_y
      - .offset:         72
        .size:           8
        .value_kind:     hidden_global_offset_z
      - .offset:         80
        .size:           2
        .value_kind:     hidden_grid_dims
    .group_segment_fixed_size: 0
    .kernarg_segment_align: 8
    .kernarg_segment_size: 272
    .language:       OpenCL C
    .language_version:
      - 2
      - 0
    .max_flat_workgroup_size: 256
    .name:           _Z18warp_reduce_kernelI6__halfLj256ELj64EENSt9enable_ifIXsr10test_utilsE35device_test_enabled_for_warp_size_vIXT1_EEEvE4typeEPT_S5_
    .private_segment_fixed_size: 0
    .sgpr_count:     12
    .sgpr_spill_count: 0
    .symbol:         _Z18warp_reduce_kernelI6__halfLj256ELj64EENSt9enable_ifIXsr10test_utilsE35device_test_enabled_for_warp_size_vIXT1_EEEvE4typeEPT_S5_.kd
    .uniform_work_group_size: 1
    .uses_dynamic_stack: false
    .vgpr_count:     6
    .vgpr_spill_count: 0
    .wavefront_size: 64
  - .agpr_count:     0
    .args:
      - .address_space:  global
        .offset:         0
        .size:           8
        .value_kind:     global_buffer
      - .address_space:  global
        .offset:         8
        .size:           8
        .value_kind:     global_buffer
      - .offset:         16
        .size:           4
        .value_kind:     hidden_block_count_x
      - .offset:         20
        .size:           4
        .value_kind:     hidden_block_count_y
      - .offset:         24
        .size:           4
        .value_kind:     hidden_block_count_z
      - .offset:         28
        .size:           2
        .value_kind:     hidden_group_size_x
      - .offset:         30
        .size:           2
        .value_kind:     hidden_group_size_y
      - .offset:         32
        .size:           2
        .value_kind:     hidden_group_size_z
      - .offset:         34
        .size:           2
        .value_kind:     hidden_remainder_x
      - .offset:         36
        .size:           2
        .value_kind:     hidden_remainder_y
      - .offset:         38
        .size:           2
        .value_kind:     hidden_remainder_z
      - .offset:         56
        .size:           8
        .value_kind:     hidden_global_offset_x
      - .offset:         64
        .size:           8
        .value_kind:     hidden_global_offset_y
      - .offset:         72
        .size:           8
        .value_kind:     hidden_global_offset_z
      - .offset:         80
        .size:           2
        .value_kind:     hidden_grid_dims
    .group_segment_fixed_size: 0
    .kernarg_segment_align: 8
    .kernarg_segment_size: 272
    .language:       OpenCL C
    .language_version:
      - 2
      - 0
    .max_flat_workgroup_size: 128
    .name:           _Z18warp_reduce_kernelI6__halfLj128ELj32EENSt9enable_ifIXsr10test_utilsE35device_test_enabled_for_warp_size_vIXT1_EEEvE4typeEPT_S5_
    .private_segment_fixed_size: 0
    .sgpr_count:     12
    .sgpr_spill_count: 0
    .symbol:         _Z18warp_reduce_kernelI6__halfLj128ELj32EENSt9enable_ifIXsr10test_utilsE35device_test_enabled_for_warp_size_vIXT1_EEEvE4typeEPT_S5_.kd
    .uniform_work_group_size: 1
    .uses_dynamic_stack: false
    .vgpr_count:     7
    .vgpr_spill_count: 0
    .wavefront_size: 64
  - .agpr_count:     0
    .args:
      - .address_space:  global
        .offset:         0
        .size:           8
        .value_kind:     global_buffer
      - .address_space:  global
        .offset:         8
        .size:           8
        .value_kind:     global_buffer
      - .offset:         16
        .size:           4
        .value_kind:     hidden_block_count_x
      - .offset:         20
        .size:           4
        .value_kind:     hidden_block_count_y
      - .offset:         24
        .size:           4
        .value_kind:     hidden_block_count_z
      - .offset:         28
        .size:           2
        .value_kind:     hidden_group_size_x
      - .offset:         30
        .size:           2
        .value_kind:     hidden_group_size_y
      - .offset:         32
        .size:           2
        .value_kind:     hidden_group_size_z
      - .offset:         34
        .size:           2
        .value_kind:     hidden_remainder_x
      - .offset:         36
        .size:           2
        .value_kind:     hidden_remainder_y
      - .offset:         38
        .size:           2
        .value_kind:     hidden_remainder_z
      - .offset:         56
        .size:           8
        .value_kind:     hidden_global_offset_x
      - .offset:         64
        .size:           8
        .value_kind:     hidden_global_offset_y
      - .offset:         72
        .size:           8
        .value_kind:     hidden_global_offset_z
      - .offset:         80
        .size:           2
        .value_kind:     hidden_grid_dims
    .group_segment_fixed_size: 0
    .kernarg_segment_align: 8
    .kernarg_segment_size: 272
    .language:       OpenCL C
    .language_version:
      - 2
      - 0
    .max_flat_workgroup_size: 64
    .name:           _Z18warp_reduce_kernelI6__halfLj64ELj16EENSt9enable_ifIXsr10test_utilsE35device_test_enabled_for_warp_size_vIXT1_EEEvE4typeEPT_S5_
    .private_segment_fixed_size: 0
    .sgpr_count:     12
    .sgpr_spill_count: 0
    .symbol:         _Z18warp_reduce_kernelI6__halfLj64ELj16EENSt9enable_ifIXsr10test_utilsE35device_test_enabled_for_warp_size_vIXT1_EEEvE4typeEPT_S5_.kd
    .uniform_work_group_size: 1
    .uses_dynamic_stack: false
    .vgpr_count:     7
    .vgpr_spill_count: 0
    .wavefront_size: 64
  - .agpr_count:     0
    .args:
      - .address_space:  global
        .offset:         0
        .size:           8
        .value_kind:     global_buffer
      - .address_space:  global
        .offset:         8
        .size:           8
        .value_kind:     global_buffer
      - .offset:         16
        .size:           4
        .value_kind:     hidden_block_count_x
      - .offset:         20
        .size:           4
        .value_kind:     hidden_block_count_y
      - .offset:         24
        .size:           4
        .value_kind:     hidden_block_count_z
      - .offset:         28
        .size:           2
        .value_kind:     hidden_group_size_x
      - .offset:         30
        .size:           2
        .value_kind:     hidden_group_size_y
      - .offset:         32
        .size:           2
        .value_kind:     hidden_group_size_z
      - .offset:         34
        .size:           2
        .value_kind:     hidden_remainder_x
      - .offset:         36
        .size:           2
        .value_kind:     hidden_remainder_y
      - .offset:         38
        .size:           2
        .value_kind:     hidden_remainder_z
      - .offset:         56
        .size:           8
        .value_kind:     hidden_global_offset_x
      - .offset:         64
        .size:           8
        .value_kind:     hidden_global_offset_y
      - .offset:         72
        .size:           8
        .value_kind:     hidden_global_offset_z
      - .offset:         80
        .size:           2
        .value_kind:     hidden_grid_dims
    .group_segment_fixed_size: 0
    .kernarg_segment_align: 8
    .kernarg_segment_size: 272
    .language:       OpenCL C
    .language_version:
      - 2
      - 0
    .max_flat_workgroup_size: 32
    .name:           _Z18warp_reduce_kernelI6__halfLj32ELj8EENSt9enable_ifIXsr10test_utilsE35device_test_enabled_for_warp_size_vIXT1_EEEvE4typeEPT_S5_
    .private_segment_fixed_size: 0
    .sgpr_count:     12
    .sgpr_spill_count: 0
    .symbol:         _Z18warp_reduce_kernelI6__halfLj32ELj8EENSt9enable_ifIXsr10test_utilsE35device_test_enabled_for_warp_size_vIXT1_EEEvE4typeEPT_S5_.kd
    .uniform_work_group_size: 1
    .uses_dynamic_stack: false
    .vgpr_count:     7
    .vgpr_spill_count: 0
    .wavefront_size: 64
  - .agpr_count:     0
    .args:
      - .address_space:  global
        .offset:         0
        .size:           8
        .value_kind:     global_buffer
      - .address_space:  global
        .offset:         8
        .size:           8
        .value_kind:     global_buffer
      - .offset:         16
        .size:           4
        .value_kind:     hidden_block_count_x
      - .offset:         20
        .size:           4
        .value_kind:     hidden_block_count_y
      - .offset:         24
        .size:           4
        .value_kind:     hidden_block_count_z
      - .offset:         28
        .size:           2
        .value_kind:     hidden_group_size_x
      - .offset:         30
        .size:           2
        .value_kind:     hidden_group_size_y
      - .offset:         32
        .size:           2
        .value_kind:     hidden_group_size_z
      - .offset:         34
        .size:           2
        .value_kind:     hidden_remainder_x
      - .offset:         36
        .size:           2
        .value_kind:     hidden_remainder_y
      - .offset:         38
        .size:           2
        .value_kind:     hidden_remainder_z
      - .offset:         56
        .size:           8
        .value_kind:     hidden_global_offset_x
      - .offset:         64
        .size:           8
        .value_kind:     hidden_global_offset_y
      - .offset:         72
        .size:           8
        .value_kind:     hidden_global_offset_z
      - .offset:         80
        .size:           2
        .value_kind:     hidden_grid_dims
    .group_segment_fixed_size: 0
    .kernarg_segment_align: 8
    .kernarg_segment_size: 272
    .language:       OpenCL C
    .language_version:
      - 2
      - 0
    .max_flat_workgroup_size: 64
    .name:           _Z18warp_reduce_kernelI6__halfLj64ELj8EENSt9enable_ifIXsr10test_utilsE35device_test_enabled_for_warp_size_vIXT1_EEEvE4typeEPT_S5_
    .private_segment_fixed_size: 0
    .sgpr_count:     12
    .sgpr_spill_count: 0
    .symbol:         _Z18warp_reduce_kernelI6__halfLj64ELj8EENSt9enable_ifIXsr10test_utilsE35device_test_enabled_for_warp_size_vIXT1_EEEvE4typeEPT_S5_.kd
    .uniform_work_group_size: 1
    .uses_dynamic_stack: false
    .vgpr_count:     7
    .vgpr_spill_count: 0
    .wavefront_size: 64
  - .agpr_count:     0
    .args:
      - .address_space:  global
        .offset:         0
        .size:           8
        .value_kind:     global_buffer
      - .address_space:  global
        .offset:         8
        .size:           8
        .value_kind:     global_buffer
      - .offset:         16
        .size:           4
        .value_kind:     hidden_block_count_x
      - .offset:         20
        .size:           4
        .value_kind:     hidden_block_count_y
      - .offset:         24
        .size:           4
        .value_kind:     hidden_block_count_z
      - .offset:         28
        .size:           2
        .value_kind:     hidden_group_size_x
      - .offset:         30
        .size:           2
        .value_kind:     hidden_group_size_y
      - .offset:         32
        .size:           2
        .value_kind:     hidden_group_size_z
      - .offset:         34
        .size:           2
        .value_kind:     hidden_remainder_x
      - .offset:         36
        .size:           2
        .value_kind:     hidden_remainder_y
      - .offset:         38
        .size:           2
        .value_kind:     hidden_remainder_z
      - .offset:         56
        .size:           8
        .value_kind:     hidden_global_offset_x
      - .offset:         64
        .size:           8
        .value_kind:     hidden_global_offset_y
      - .offset:         72
        .size:           8
        .value_kind:     hidden_global_offset_z
      - .offset:         80
        .size:           2
        .value_kind:     hidden_grid_dims
    .group_segment_fixed_size: 0
    .kernarg_segment_align: 8
    .kernarg_segment_size: 272
    .language:       OpenCL C
    .language_version:
      - 2
      - 0
    .max_flat_workgroup_size: 32
    .name:           _Z18warp_reduce_kernelI6__halfLj32ELj4EENSt9enable_ifIXsr10test_utilsE35device_test_enabled_for_warp_size_vIXT1_EEEvE4typeEPT_S5_
    .private_segment_fixed_size: 0
    .sgpr_count:     12
    .sgpr_spill_count: 0
    .symbol:         _Z18warp_reduce_kernelI6__halfLj32ELj4EENSt9enable_ifIXsr10test_utilsE35device_test_enabled_for_warp_size_vIXT1_EEEvE4typeEPT_S5_.kd
    .uniform_work_group_size: 1
    .uses_dynamic_stack: false
    .vgpr_count:     7
    .vgpr_spill_count: 0
    .wavefront_size: 64
  - .agpr_count:     0
    .args:
      - .address_space:  global
        .offset:         0
        .size:           8
        .value_kind:     global_buffer
      - .address_space:  global
        .offset:         8
        .size:           8
        .value_kind:     global_buffer
      - .offset:         16
        .size:           4
        .value_kind:     hidden_block_count_x
      - .offset:         20
        .size:           4
        .value_kind:     hidden_block_count_y
      - .offset:         24
        .size:           4
        .value_kind:     hidden_block_count_z
      - .offset:         28
        .size:           2
        .value_kind:     hidden_group_size_x
      - .offset:         30
        .size:           2
        .value_kind:     hidden_group_size_y
      - .offset:         32
        .size:           2
        .value_kind:     hidden_group_size_z
      - .offset:         34
        .size:           2
        .value_kind:     hidden_remainder_x
      - .offset:         36
        .size:           2
        .value_kind:     hidden_remainder_y
      - .offset:         38
        .size:           2
        .value_kind:     hidden_remainder_z
      - .offset:         56
        .size:           8
        .value_kind:     hidden_global_offset_x
      - .offset:         64
        .size:           8
        .value_kind:     hidden_global_offset_y
      - .offset:         72
        .size:           8
        .value_kind:     hidden_global_offset_z
      - .offset:         80
        .size:           2
        .value_kind:     hidden_grid_dims
    .group_segment_fixed_size: 0
    .kernarg_segment_align: 8
    .kernarg_segment_size: 272
    .language:       OpenCL C
    .language_version:
      - 2
      - 0
    .max_flat_workgroup_size: 64
    .name:           _Z18warp_reduce_kernelI6__halfLj64ELj4EENSt9enable_ifIXsr10test_utilsE35device_test_enabled_for_warp_size_vIXT1_EEEvE4typeEPT_S5_
    .private_segment_fixed_size: 0
    .sgpr_count:     12
    .sgpr_spill_count: 0
    .symbol:         _Z18warp_reduce_kernelI6__halfLj64ELj4EENSt9enable_ifIXsr10test_utilsE35device_test_enabled_for_warp_size_vIXT1_EEEvE4typeEPT_S5_.kd
    .uniform_work_group_size: 1
    .uses_dynamic_stack: false
    .vgpr_count:     7
    .vgpr_spill_count: 0
    .wavefront_size: 64
  - .agpr_count:     0
    .args:
      - .address_space:  global
        .offset:         0
        .size:           8
        .value_kind:     global_buffer
      - .address_space:  global
        .offset:         8
        .size:           8
        .value_kind:     global_buffer
      - .offset:         16
        .size:           4
        .value_kind:     hidden_block_count_x
      - .offset:         20
        .size:           4
        .value_kind:     hidden_block_count_y
      - .offset:         24
        .size:           4
        .value_kind:     hidden_block_count_z
      - .offset:         28
        .size:           2
        .value_kind:     hidden_group_size_x
      - .offset:         30
        .size:           2
        .value_kind:     hidden_group_size_y
      - .offset:         32
        .size:           2
        .value_kind:     hidden_group_size_z
      - .offset:         34
        .size:           2
        .value_kind:     hidden_remainder_x
      - .offset:         36
        .size:           2
        .value_kind:     hidden_remainder_y
      - .offset:         38
        .size:           2
        .value_kind:     hidden_remainder_z
      - .offset:         56
        .size:           8
        .value_kind:     hidden_global_offset_x
      - .offset:         64
        .size:           8
        .value_kind:     hidden_global_offset_y
      - .offset:         72
        .size:           8
        .value_kind:     hidden_global_offset_z
      - .offset:         80
        .size:           2
        .value_kind:     hidden_grid_dims
    .group_segment_fixed_size: 0
    .kernarg_segment_align: 8
    .kernarg_segment_size: 272
    .language:       OpenCL C
    .language_version:
      - 2
      - 0
    .max_flat_workgroup_size: 32
    .name:           _Z18warp_reduce_kernelI6__halfLj32ELj2EENSt9enable_ifIXsr10test_utilsE35device_test_enabled_for_warp_size_vIXT1_EEEvE4typeEPT_S5_
    .private_segment_fixed_size: 0
    .sgpr_count:     12
    .sgpr_spill_count: 0
    .symbol:         _Z18warp_reduce_kernelI6__halfLj32ELj2EENSt9enable_ifIXsr10test_utilsE35device_test_enabled_for_warp_size_vIXT1_EEEvE4typeEPT_S5_.kd
    .uniform_work_group_size: 1
    .uses_dynamic_stack: false
    .vgpr_count:     6
    .vgpr_spill_count: 0
    .wavefront_size: 64
  - .agpr_count:     0
    .args:
      - .address_space:  global
        .offset:         0
        .size:           8
        .value_kind:     global_buffer
      - .address_space:  global
        .offset:         8
        .size:           8
        .value_kind:     global_buffer
      - .offset:         16
        .size:           4
        .value_kind:     hidden_block_count_x
      - .offset:         20
        .size:           4
        .value_kind:     hidden_block_count_y
      - .offset:         24
        .size:           4
        .value_kind:     hidden_block_count_z
      - .offset:         28
        .size:           2
        .value_kind:     hidden_group_size_x
      - .offset:         30
        .size:           2
        .value_kind:     hidden_group_size_y
      - .offset:         32
        .size:           2
        .value_kind:     hidden_group_size_z
      - .offset:         34
        .size:           2
        .value_kind:     hidden_remainder_x
      - .offset:         36
        .size:           2
        .value_kind:     hidden_remainder_y
      - .offset:         38
        .size:           2
        .value_kind:     hidden_remainder_z
      - .offset:         56
        .size:           8
        .value_kind:     hidden_global_offset_x
      - .offset:         64
        .size:           8
        .value_kind:     hidden_global_offset_y
      - .offset:         72
        .size:           8
        .value_kind:     hidden_global_offset_z
      - .offset:         80
        .size:           2
        .value_kind:     hidden_grid_dims
    .group_segment_fixed_size: 0
    .kernarg_segment_align: 8
    .kernarg_segment_size: 272
    .language:       OpenCL C
    .language_version:
      - 2
      - 0
    .max_flat_workgroup_size: 64
    .name:           _Z18warp_reduce_kernelI6__halfLj64ELj2EENSt9enable_ifIXsr10test_utilsE35device_test_enabled_for_warp_size_vIXT1_EEEvE4typeEPT_S5_
    .private_segment_fixed_size: 0
    .sgpr_count:     12
    .sgpr_spill_count: 0
    .symbol:         _Z18warp_reduce_kernelI6__halfLj64ELj2EENSt9enable_ifIXsr10test_utilsE35device_test_enabled_for_warp_size_vIXT1_EEEvE4typeEPT_S5_.kd
    .uniform_work_group_size: 1
    .uses_dynamic_stack: false
    .vgpr_count:     6
    .vgpr_spill_count: 0
    .wavefront_size: 64
  - .agpr_count:     0
    .args:
      - .address_space:  global
        .offset:         0
        .size:           8
        .value_kind:     global_buffer
      - .address_space:  global
        .offset:         8
        .size:           8
        .value_kind:     global_buffer
      - .offset:         16
        .size:           4
        .value_kind:     hidden_block_count_x
      - .offset:         20
        .size:           4
        .value_kind:     hidden_block_count_y
      - .offset:         24
        .size:           4
        .value_kind:     hidden_block_count_z
      - .offset:         28
        .size:           2
        .value_kind:     hidden_group_size_x
      - .offset:         30
        .size:           2
        .value_kind:     hidden_group_size_y
      - .offset:         32
        .size:           2
        .value_kind:     hidden_group_size_z
      - .offset:         34
        .size:           2
        .value_kind:     hidden_remainder_x
      - .offset:         36
        .size:           2
        .value_kind:     hidden_remainder_y
      - .offset:         38
        .size:           2
        .value_kind:     hidden_remainder_z
      - .offset:         56
        .size:           8
        .value_kind:     hidden_global_offset_x
      - .offset:         64
        .size:           8
        .value_kind:     hidden_global_offset_y
      - .offset:         72
        .size:           8
        .value_kind:     hidden_global_offset_z
      - .offset:         80
        .size:           2
        .value_kind:     hidden_grid_dims
    .group_segment_fixed_size: 0
    .kernarg_segment_align: 8
    .kernarg_segment_size: 272
    .language:       OpenCL C
    .language_version:
      - 2
      - 0
    .max_flat_workgroup_size: 32
    .name:           _Z18warp_reduce_kernelI6__halfLj32ELj1EENSt9enable_ifIXsr10test_utilsE35device_test_enabled_for_warp_size_vIXT1_EEEvE4typeEPT_S5_
    .private_segment_fixed_size: 0
    .sgpr_count:     12
    .sgpr_spill_count: 0
    .symbol:         _Z18warp_reduce_kernelI6__halfLj32ELj1EENSt9enable_ifIXsr10test_utilsE35device_test_enabled_for_warp_size_vIXT1_EEEvE4typeEPT_S5_.kd
    .uniform_work_group_size: 1
    .uses_dynamic_stack: false
    .vgpr_count:     4
    .vgpr_spill_count: 0
    .wavefront_size: 64
  - .agpr_count:     0
    .args:
      - .address_space:  global
        .offset:         0
        .size:           8
        .value_kind:     global_buffer
      - .address_space:  global
        .offset:         8
        .size:           8
        .value_kind:     global_buffer
      - .offset:         16
        .size:           4
        .value_kind:     hidden_block_count_x
      - .offset:         20
        .size:           4
        .value_kind:     hidden_block_count_y
      - .offset:         24
        .size:           4
        .value_kind:     hidden_block_count_z
      - .offset:         28
        .size:           2
        .value_kind:     hidden_group_size_x
      - .offset:         30
        .size:           2
        .value_kind:     hidden_group_size_y
      - .offset:         32
        .size:           2
        .value_kind:     hidden_group_size_z
      - .offset:         34
        .size:           2
        .value_kind:     hidden_remainder_x
      - .offset:         36
        .size:           2
        .value_kind:     hidden_remainder_y
      - .offset:         38
        .size:           2
        .value_kind:     hidden_remainder_z
      - .offset:         56
        .size:           8
        .value_kind:     hidden_global_offset_x
      - .offset:         64
        .size:           8
        .value_kind:     hidden_global_offset_y
      - .offset:         72
        .size:           8
        .value_kind:     hidden_global_offset_z
      - .offset:         80
        .size:           2
        .value_kind:     hidden_grid_dims
    .group_segment_fixed_size: 0
    .kernarg_segment_align: 8
    .kernarg_segment_size: 272
    .language:       OpenCL C
    .language_version:
      - 2
      - 0
    .max_flat_workgroup_size: 64
    .name:           _Z18warp_reduce_kernelI6__halfLj64ELj1EENSt9enable_ifIXsr10test_utilsE35device_test_enabled_for_warp_size_vIXT1_EEEvE4typeEPT_S5_
    .private_segment_fixed_size: 0
    .sgpr_count:     12
    .sgpr_spill_count: 0
    .symbol:         _Z18warp_reduce_kernelI6__halfLj64ELj1EENSt9enable_ifIXsr10test_utilsE35device_test_enabled_for_warp_size_vIXT1_EEEvE4typeEPT_S5_.kd
    .uniform_work_group_size: 1
    .uses_dynamic_stack: false
    .vgpr_count:     4
    .vgpr_spill_count: 0
    .wavefront_size: 64
  - .agpr_count:     0
    .args:
      - .address_space:  global
        .offset:         0
        .size:           8
        .value_kind:     global_buffer
      - .address_space:  global
        .offset:         8
        .size:           8
        .value_kind:     global_buffer
      - .offset:         16
        .size:           4
        .value_kind:     hidden_block_count_x
      - .offset:         20
        .size:           4
        .value_kind:     hidden_block_count_y
      - .offset:         24
        .size:           4
        .value_kind:     hidden_block_count_z
      - .offset:         28
        .size:           2
        .value_kind:     hidden_group_size_x
      - .offset:         30
        .size:           2
        .value_kind:     hidden_group_size_y
      - .offset:         32
        .size:           2
        .value_kind:     hidden_group_size_z
      - .offset:         34
        .size:           2
        .value_kind:     hidden_remainder_x
      - .offset:         36
        .size:           2
        .value_kind:     hidden_remainder_y
      - .offset:         38
        .size:           2
        .value_kind:     hidden_remainder_z
      - .offset:         56
        .size:           8
        .value_kind:     hidden_global_offset_x
      - .offset:         64
        .size:           8
        .value_kind:     hidden_global_offset_y
      - .offset:         72
        .size:           8
        .value_kind:     hidden_global_offset_z
      - .offset:         80
        .size:           2
        .value_kind:     hidden_grid_dims
    .group_segment_fixed_size: 0
    .kernarg_segment_align: 8
    .kernarg_segment_size: 272
    .language:       OpenCL C
    .language_version:
      - 2
      - 0
    .max_flat_workgroup_size: 256
    .name:           _Z18warp_reduce_kernelIfLj256ELj64EENSt9enable_ifIXsr10test_utilsE35device_test_enabled_for_warp_size_vIXT1_EEEvE4typeEPT_S4_
    .private_segment_fixed_size: 0
    .sgpr_count:     12
    .sgpr_spill_count: 0
    .symbol:         _Z18warp_reduce_kernelIfLj256ELj64EENSt9enable_ifIXsr10test_utilsE35device_test_enabled_for_warp_size_vIXT1_EEEvE4typeEPT_S4_.kd
    .uniform_work_group_size: 1
    .uses_dynamic_stack: false
    .vgpr_count:     6
    .vgpr_spill_count: 0
    .wavefront_size: 64
  - .agpr_count:     0
    .args:
      - .address_space:  global
        .offset:         0
        .size:           8
        .value_kind:     global_buffer
      - .address_space:  global
        .offset:         8
        .size:           8
        .value_kind:     global_buffer
      - .offset:         16
        .size:           4
        .value_kind:     hidden_block_count_x
      - .offset:         20
        .size:           4
        .value_kind:     hidden_block_count_y
      - .offset:         24
        .size:           4
        .value_kind:     hidden_block_count_z
      - .offset:         28
        .size:           2
        .value_kind:     hidden_group_size_x
      - .offset:         30
        .size:           2
        .value_kind:     hidden_group_size_y
      - .offset:         32
        .size:           2
        .value_kind:     hidden_group_size_z
      - .offset:         34
        .size:           2
        .value_kind:     hidden_remainder_x
      - .offset:         36
        .size:           2
        .value_kind:     hidden_remainder_y
      - .offset:         38
        .size:           2
        .value_kind:     hidden_remainder_z
      - .offset:         56
        .size:           8
        .value_kind:     hidden_global_offset_x
      - .offset:         64
        .size:           8
        .value_kind:     hidden_global_offset_y
      - .offset:         72
        .size:           8
        .value_kind:     hidden_global_offset_z
      - .offset:         80
        .size:           2
        .value_kind:     hidden_grid_dims
    .group_segment_fixed_size: 0
    .kernarg_segment_align: 8
    .kernarg_segment_size: 272
    .language:       OpenCL C
    .language_version:
      - 2
      - 0
    .max_flat_workgroup_size: 128
    .name:           _Z18warp_reduce_kernelIfLj128ELj32EENSt9enable_ifIXsr10test_utilsE35device_test_enabled_for_warp_size_vIXT1_EEEvE4typeEPT_S4_
    .private_segment_fixed_size: 0
    .sgpr_count:     12
    .sgpr_spill_count: 0
    .symbol:         _Z18warp_reduce_kernelIfLj128ELj32EENSt9enable_ifIXsr10test_utilsE35device_test_enabled_for_warp_size_vIXT1_EEEvE4typeEPT_S4_.kd
    .uniform_work_group_size: 1
    .uses_dynamic_stack: false
    .vgpr_count:     7
    .vgpr_spill_count: 0
    .wavefront_size: 64
  - .agpr_count:     0
    .args:
      - .address_space:  global
        .offset:         0
        .size:           8
        .value_kind:     global_buffer
      - .address_space:  global
        .offset:         8
        .size:           8
        .value_kind:     global_buffer
      - .offset:         16
        .size:           4
        .value_kind:     hidden_block_count_x
      - .offset:         20
        .size:           4
        .value_kind:     hidden_block_count_y
      - .offset:         24
        .size:           4
        .value_kind:     hidden_block_count_z
      - .offset:         28
        .size:           2
        .value_kind:     hidden_group_size_x
      - .offset:         30
        .size:           2
        .value_kind:     hidden_group_size_y
      - .offset:         32
        .size:           2
        .value_kind:     hidden_group_size_z
      - .offset:         34
        .size:           2
        .value_kind:     hidden_remainder_x
      - .offset:         36
        .size:           2
        .value_kind:     hidden_remainder_y
      - .offset:         38
        .size:           2
        .value_kind:     hidden_remainder_z
      - .offset:         56
        .size:           8
        .value_kind:     hidden_global_offset_x
      - .offset:         64
        .size:           8
        .value_kind:     hidden_global_offset_y
      - .offset:         72
        .size:           8
        .value_kind:     hidden_global_offset_z
      - .offset:         80
        .size:           2
        .value_kind:     hidden_grid_dims
    .group_segment_fixed_size: 0
    .kernarg_segment_align: 8
    .kernarg_segment_size: 272
    .language:       OpenCL C
    .language_version:
      - 2
      - 0
    .max_flat_workgroup_size: 64
    .name:           _Z18warp_reduce_kernelIfLj64ELj16EENSt9enable_ifIXsr10test_utilsE35device_test_enabled_for_warp_size_vIXT1_EEEvE4typeEPT_S4_
    .private_segment_fixed_size: 0
    .sgpr_count:     12
    .sgpr_spill_count: 0
    .symbol:         _Z18warp_reduce_kernelIfLj64ELj16EENSt9enable_ifIXsr10test_utilsE35device_test_enabled_for_warp_size_vIXT1_EEEvE4typeEPT_S4_.kd
    .uniform_work_group_size: 1
    .uses_dynamic_stack: false
    .vgpr_count:     7
    .vgpr_spill_count: 0
    .wavefront_size: 64
  - .agpr_count:     0
    .args:
      - .address_space:  global
        .offset:         0
        .size:           8
        .value_kind:     global_buffer
      - .address_space:  global
        .offset:         8
        .size:           8
        .value_kind:     global_buffer
      - .offset:         16
        .size:           4
        .value_kind:     hidden_block_count_x
      - .offset:         20
        .size:           4
        .value_kind:     hidden_block_count_y
      - .offset:         24
        .size:           4
        .value_kind:     hidden_block_count_z
      - .offset:         28
        .size:           2
        .value_kind:     hidden_group_size_x
      - .offset:         30
        .size:           2
        .value_kind:     hidden_group_size_y
      - .offset:         32
        .size:           2
        .value_kind:     hidden_group_size_z
      - .offset:         34
        .size:           2
        .value_kind:     hidden_remainder_x
      - .offset:         36
        .size:           2
        .value_kind:     hidden_remainder_y
      - .offset:         38
        .size:           2
        .value_kind:     hidden_remainder_z
      - .offset:         56
        .size:           8
        .value_kind:     hidden_global_offset_x
      - .offset:         64
        .size:           8
        .value_kind:     hidden_global_offset_y
      - .offset:         72
        .size:           8
        .value_kind:     hidden_global_offset_z
      - .offset:         80
        .size:           2
        .value_kind:     hidden_grid_dims
    .group_segment_fixed_size: 0
    .kernarg_segment_align: 8
    .kernarg_segment_size: 272
    .language:       OpenCL C
    .language_version:
      - 2
      - 0
    .max_flat_workgroup_size: 32
    .name:           _Z18warp_reduce_kernelIfLj32ELj8EENSt9enable_ifIXsr10test_utilsE35device_test_enabled_for_warp_size_vIXT1_EEEvE4typeEPT_S4_
    .private_segment_fixed_size: 0
    .sgpr_count:     12
    .sgpr_spill_count: 0
    .symbol:         _Z18warp_reduce_kernelIfLj32ELj8EENSt9enable_ifIXsr10test_utilsE35device_test_enabled_for_warp_size_vIXT1_EEEvE4typeEPT_S4_.kd
    .uniform_work_group_size: 1
    .uses_dynamic_stack: false
    .vgpr_count:     7
    .vgpr_spill_count: 0
    .wavefront_size: 64
  - .agpr_count:     0
    .args:
      - .address_space:  global
        .offset:         0
        .size:           8
        .value_kind:     global_buffer
      - .address_space:  global
        .offset:         8
        .size:           8
        .value_kind:     global_buffer
      - .offset:         16
        .size:           4
        .value_kind:     hidden_block_count_x
      - .offset:         20
        .size:           4
        .value_kind:     hidden_block_count_y
      - .offset:         24
        .size:           4
        .value_kind:     hidden_block_count_z
      - .offset:         28
        .size:           2
        .value_kind:     hidden_group_size_x
      - .offset:         30
        .size:           2
        .value_kind:     hidden_group_size_y
      - .offset:         32
        .size:           2
        .value_kind:     hidden_group_size_z
      - .offset:         34
        .size:           2
        .value_kind:     hidden_remainder_x
      - .offset:         36
        .size:           2
        .value_kind:     hidden_remainder_y
      - .offset:         38
        .size:           2
        .value_kind:     hidden_remainder_z
      - .offset:         56
        .size:           8
        .value_kind:     hidden_global_offset_x
      - .offset:         64
        .size:           8
        .value_kind:     hidden_global_offset_y
      - .offset:         72
        .size:           8
        .value_kind:     hidden_global_offset_z
      - .offset:         80
        .size:           2
        .value_kind:     hidden_grid_dims
    .group_segment_fixed_size: 0
    .kernarg_segment_align: 8
    .kernarg_segment_size: 272
    .language:       OpenCL C
    .language_version:
      - 2
      - 0
    .max_flat_workgroup_size: 64
    .name:           _Z18warp_reduce_kernelIfLj64ELj8EENSt9enable_ifIXsr10test_utilsE35device_test_enabled_for_warp_size_vIXT1_EEEvE4typeEPT_S4_
    .private_segment_fixed_size: 0
    .sgpr_count:     12
    .sgpr_spill_count: 0
    .symbol:         _Z18warp_reduce_kernelIfLj64ELj8EENSt9enable_ifIXsr10test_utilsE35device_test_enabled_for_warp_size_vIXT1_EEEvE4typeEPT_S4_.kd
    .uniform_work_group_size: 1
    .uses_dynamic_stack: false
    .vgpr_count:     7
    .vgpr_spill_count: 0
    .wavefront_size: 64
  - .agpr_count:     0
    .args:
      - .address_space:  global
        .offset:         0
        .size:           8
        .value_kind:     global_buffer
      - .address_space:  global
        .offset:         8
        .size:           8
        .value_kind:     global_buffer
      - .offset:         16
        .size:           4
        .value_kind:     hidden_block_count_x
      - .offset:         20
        .size:           4
        .value_kind:     hidden_block_count_y
      - .offset:         24
        .size:           4
        .value_kind:     hidden_block_count_z
      - .offset:         28
        .size:           2
        .value_kind:     hidden_group_size_x
      - .offset:         30
        .size:           2
        .value_kind:     hidden_group_size_y
      - .offset:         32
        .size:           2
        .value_kind:     hidden_group_size_z
      - .offset:         34
        .size:           2
        .value_kind:     hidden_remainder_x
      - .offset:         36
        .size:           2
        .value_kind:     hidden_remainder_y
      - .offset:         38
        .size:           2
        .value_kind:     hidden_remainder_z
      - .offset:         56
        .size:           8
        .value_kind:     hidden_global_offset_x
      - .offset:         64
        .size:           8
        .value_kind:     hidden_global_offset_y
      - .offset:         72
        .size:           8
        .value_kind:     hidden_global_offset_z
      - .offset:         80
        .size:           2
        .value_kind:     hidden_grid_dims
    .group_segment_fixed_size: 0
    .kernarg_segment_align: 8
    .kernarg_segment_size: 272
    .language:       OpenCL C
    .language_version:
      - 2
      - 0
    .max_flat_workgroup_size: 32
    .name:           _Z18warp_reduce_kernelIfLj32ELj4EENSt9enable_ifIXsr10test_utilsE35device_test_enabled_for_warp_size_vIXT1_EEEvE4typeEPT_S4_
    .private_segment_fixed_size: 0
    .sgpr_count:     12
    .sgpr_spill_count: 0
    .symbol:         _Z18warp_reduce_kernelIfLj32ELj4EENSt9enable_ifIXsr10test_utilsE35device_test_enabled_for_warp_size_vIXT1_EEEvE4typeEPT_S4_.kd
    .uniform_work_group_size: 1
    .uses_dynamic_stack: false
    .vgpr_count:     6
    .vgpr_spill_count: 0
    .wavefront_size: 64
  - .agpr_count:     0
    .args:
      - .address_space:  global
        .offset:         0
        .size:           8
        .value_kind:     global_buffer
      - .address_space:  global
        .offset:         8
        .size:           8
        .value_kind:     global_buffer
      - .offset:         16
        .size:           4
        .value_kind:     hidden_block_count_x
      - .offset:         20
        .size:           4
        .value_kind:     hidden_block_count_y
      - .offset:         24
        .size:           4
        .value_kind:     hidden_block_count_z
      - .offset:         28
        .size:           2
        .value_kind:     hidden_group_size_x
      - .offset:         30
        .size:           2
        .value_kind:     hidden_group_size_y
      - .offset:         32
        .size:           2
        .value_kind:     hidden_group_size_z
      - .offset:         34
        .size:           2
        .value_kind:     hidden_remainder_x
      - .offset:         36
        .size:           2
        .value_kind:     hidden_remainder_y
      - .offset:         38
        .size:           2
        .value_kind:     hidden_remainder_z
      - .offset:         56
        .size:           8
        .value_kind:     hidden_global_offset_x
      - .offset:         64
        .size:           8
        .value_kind:     hidden_global_offset_y
      - .offset:         72
        .size:           8
        .value_kind:     hidden_global_offset_z
      - .offset:         80
        .size:           2
        .value_kind:     hidden_grid_dims
    .group_segment_fixed_size: 0
    .kernarg_segment_align: 8
    .kernarg_segment_size: 272
    .language:       OpenCL C
    .language_version:
      - 2
      - 0
    .max_flat_workgroup_size: 64
    .name:           _Z18warp_reduce_kernelIfLj64ELj4EENSt9enable_ifIXsr10test_utilsE35device_test_enabled_for_warp_size_vIXT1_EEEvE4typeEPT_S4_
    .private_segment_fixed_size: 0
    .sgpr_count:     12
    .sgpr_spill_count: 0
    .symbol:         _Z18warp_reduce_kernelIfLj64ELj4EENSt9enable_ifIXsr10test_utilsE35device_test_enabled_for_warp_size_vIXT1_EEEvE4typeEPT_S4_.kd
    .uniform_work_group_size: 1
    .uses_dynamic_stack: false
    .vgpr_count:     6
    .vgpr_spill_count: 0
    .wavefront_size: 64
  - .agpr_count:     0
    .args:
      - .address_space:  global
        .offset:         0
        .size:           8
        .value_kind:     global_buffer
      - .address_space:  global
        .offset:         8
        .size:           8
        .value_kind:     global_buffer
      - .offset:         16
        .size:           4
        .value_kind:     hidden_block_count_x
      - .offset:         20
        .size:           4
        .value_kind:     hidden_block_count_y
      - .offset:         24
        .size:           4
        .value_kind:     hidden_block_count_z
      - .offset:         28
        .size:           2
        .value_kind:     hidden_group_size_x
      - .offset:         30
        .size:           2
        .value_kind:     hidden_group_size_y
      - .offset:         32
        .size:           2
        .value_kind:     hidden_group_size_z
      - .offset:         34
        .size:           2
        .value_kind:     hidden_remainder_x
      - .offset:         36
        .size:           2
        .value_kind:     hidden_remainder_y
      - .offset:         38
        .size:           2
        .value_kind:     hidden_remainder_z
      - .offset:         56
        .size:           8
        .value_kind:     hidden_global_offset_x
      - .offset:         64
        .size:           8
        .value_kind:     hidden_global_offset_y
      - .offset:         72
        .size:           8
        .value_kind:     hidden_global_offset_z
      - .offset:         80
        .size:           2
        .value_kind:     hidden_grid_dims
    .group_segment_fixed_size: 0
    .kernarg_segment_align: 8
    .kernarg_segment_size: 272
    .language:       OpenCL C
    .language_version:
      - 2
      - 0
    .max_flat_workgroup_size: 32
    .name:           _Z18warp_reduce_kernelIfLj32ELj2EENSt9enable_ifIXsr10test_utilsE35device_test_enabled_for_warp_size_vIXT1_EEEvE4typeEPT_S4_
    .private_segment_fixed_size: 0
    .sgpr_count:     12
    .sgpr_spill_count: 0
    .symbol:         _Z18warp_reduce_kernelIfLj32ELj2EENSt9enable_ifIXsr10test_utilsE35device_test_enabled_for_warp_size_vIXT1_EEEvE4typeEPT_S4_.kd
    .uniform_work_group_size: 1
    .uses_dynamic_stack: false
    .vgpr_count:     6
    .vgpr_spill_count: 0
    .wavefront_size: 64
  - .agpr_count:     0
    .args:
      - .address_space:  global
        .offset:         0
        .size:           8
        .value_kind:     global_buffer
      - .address_space:  global
        .offset:         8
        .size:           8
        .value_kind:     global_buffer
      - .offset:         16
        .size:           4
        .value_kind:     hidden_block_count_x
      - .offset:         20
        .size:           4
        .value_kind:     hidden_block_count_y
      - .offset:         24
        .size:           4
        .value_kind:     hidden_block_count_z
      - .offset:         28
        .size:           2
        .value_kind:     hidden_group_size_x
      - .offset:         30
        .size:           2
        .value_kind:     hidden_group_size_y
      - .offset:         32
        .size:           2
        .value_kind:     hidden_group_size_z
      - .offset:         34
        .size:           2
        .value_kind:     hidden_remainder_x
      - .offset:         36
        .size:           2
        .value_kind:     hidden_remainder_y
      - .offset:         38
        .size:           2
        .value_kind:     hidden_remainder_z
      - .offset:         56
        .size:           8
        .value_kind:     hidden_global_offset_x
      - .offset:         64
        .size:           8
        .value_kind:     hidden_global_offset_y
      - .offset:         72
        .size:           8
        .value_kind:     hidden_global_offset_z
      - .offset:         80
        .size:           2
        .value_kind:     hidden_grid_dims
    .group_segment_fixed_size: 0
    .kernarg_segment_align: 8
    .kernarg_segment_size: 272
    .language:       OpenCL C
    .language_version:
      - 2
      - 0
    .max_flat_workgroup_size: 64
    .name:           _Z18warp_reduce_kernelIfLj64ELj2EENSt9enable_ifIXsr10test_utilsE35device_test_enabled_for_warp_size_vIXT1_EEEvE4typeEPT_S4_
    .private_segment_fixed_size: 0
    .sgpr_count:     12
    .sgpr_spill_count: 0
    .symbol:         _Z18warp_reduce_kernelIfLj64ELj2EENSt9enable_ifIXsr10test_utilsE35device_test_enabled_for_warp_size_vIXT1_EEEvE4typeEPT_S4_.kd
    .uniform_work_group_size: 1
    .uses_dynamic_stack: false
    .vgpr_count:     6
    .vgpr_spill_count: 0
    .wavefront_size: 64
  - .agpr_count:     0
    .args:
      - .address_space:  global
        .offset:         0
        .size:           8
        .value_kind:     global_buffer
      - .address_space:  global
        .offset:         8
        .size:           8
        .value_kind:     global_buffer
      - .offset:         16
        .size:           4
        .value_kind:     hidden_block_count_x
      - .offset:         20
        .size:           4
        .value_kind:     hidden_block_count_y
      - .offset:         24
        .size:           4
        .value_kind:     hidden_block_count_z
      - .offset:         28
        .size:           2
        .value_kind:     hidden_group_size_x
      - .offset:         30
        .size:           2
        .value_kind:     hidden_group_size_y
      - .offset:         32
        .size:           2
        .value_kind:     hidden_group_size_z
      - .offset:         34
        .size:           2
        .value_kind:     hidden_remainder_x
      - .offset:         36
        .size:           2
        .value_kind:     hidden_remainder_y
      - .offset:         38
        .size:           2
        .value_kind:     hidden_remainder_z
      - .offset:         56
        .size:           8
        .value_kind:     hidden_global_offset_x
      - .offset:         64
        .size:           8
        .value_kind:     hidden_global_offset_y
      - .offset:         72
        .size:           8
        .value_kind:     hidden_global_offset_z
      - .offset:         80
        .size:           2
        .value_kind:     hidden_grid_dims
    .group_segment_fixed_size: 0
    .kernarg_segment_align: 8
    .kernarg_segment_size: 272
    .language:       OpenCL C
    .language_version:
      - 2
      - 0
    .max_flat_workgroup_size: 32
    .name:           _Z18warp_reduce_kernelIfLj32ELj1EENSt9enable_ifIXsr10test_utilsE35device_test_enabled_for_warp_size_vIXT1_EEEvE4typeEPT_S4_
    .private_segment_fixed_size: 0
    .sgpr_count:     12
    .sgpr_spill_count: 0
    .symbol:         _Z18warp_reduce_kernelIfLj32ELj1EENSt9enable_ifIXsr10test_utilsE35device_test_enabled_for_warp_size_vIXT1_EEEvE4typeEPT_S4_.kd
    .uniform_work_group_size: 1
    .uses_dynamic_stack: false
    .vgpr_count:     4
    .vgpr_spill_count: 0
    .wavefront_size: 64
  - .agpr_count:     0
    .args:
      - .address_space:  global
        .offset:         0
        .size:           8
        .value_kind:     global_buffer
      - .address_space:  global
        .offset:         8
        .size:           8
        .value_kind:     global_buffer
      - .offset:         16
        .size:           4
        .value_kind:     hidden_block_count_x
      - .offset:         20
        .size:           4
        .value_kind:     hidden_block_count_y
      - .offset:         24
        .size:           4
        .value_kind:     hidden_block_count_z
      - .offset:         28
        .size:           2
        .value_kind:     hidden_group_size_x
      - .offset:         30
        .size:           2
        .value_kind:     hidden_group_size_y
      - .offset:         32
        .size:           2
        .value_kind:     hidden_group_size_z
      - .offset:         34
        .size:           2
        .value_kind:     hidden_remainder_x
      - .offset:         36
        .size:           2
        .value_kind:     hidden_remainder_y
      - .offset:         38
        .size:           2
        .value_kind:     hidden_remainder_z
      - .offset:         56
        .size:           8
        .value_kind:     hidden_global_offset_x
      - .offset:         64
        .size:           8
        .value_kind:     hidden_global_offset_y
      - .offset:         72
        .size:           8
        .value_kind:     hidden_global_offset_z
      - .offset:         80
        .size:           2
        .value_kind:     hidden_grid_dims
    .group_segment_fixed_size: 0
    .kernarg_segment_align: 8
    .kernarg_segment_size: 272
    .language:       OpenCL C
    .language_version:
      - 2
      - 0
    .max_flat_workgroup_size: 64
    .name:           _Z18warp_reduce_kernelIfLj64ELj1EENSt9enable_ifIXsr10test_utilsE35device_test_enabled_for_warp_size_vIXT1_EEEvE4typeEPT_S4_
    .private_segment_fixed_size: 0
    .sgpr_count:     12
    .sgpr_spill_count: 0
    .symbol:         _Z18warp_reduce_kernelIfLj64ELj1EENSt9enable_ifIXsr10test_utilsE35device_test_enabled_for_warp_size_vIXT1_EEEvE4typeEPT_S4_.kd
    .uniform_work_group_size: 1
    .uses_dynamic_stack: false
    .vgpr_count:     4
    .vgpr_spill_count: 0
    .wavefront_size: 64
  - .agpr_count:     0
    .args:
      - .address_space:  global
        .offset:         0
        .size:           8
        .value_kind:     global_buffer
      - .address_space:  global
        .offset:         8
        .size:           8
        .value_kind:     global_buffer
      - .offset:         16
        .size:           4
        .value_kind:     hidden_block_count_x
      - .offset:         20
        .size:           4
        .value_kind:     hidden_block_count_y
      - .offset:         24
        .size:           4
        .value_kind:     hidden_block_count_z
      - .offset:         28
        .size:           2
        .value_kind:     hidden_group_size_x
      - .offset:         30
        .size:           2
        .value_kind:     hidden_group_size_y
      - .offset:         32
        .size:           2
        .value_kind:     hidden_group_size_z
      - .offset:         34
        .size:           2
        .value_kind:     hidden_remainder_x
      - .offset:         36
        .size:           2
        .value_kind:     hidden_remainder_y
      - .offset:         38
        .size:           2
        .value_kind:     hidden_remainder_z
      - .offset:         56
        .size:           8
        .value_kind:     hidden_global_offset_x
      - .offset:         64
        .size:           8
        .value_kind:     hidden_global_offset_y
      - .offset:         72
        .size:           8
        .value_kind:     hidden_global_offset_z
      - .offset:         80
        .size:           2
        .value_kind:     hidden_grid_dims
    .group_segment_fixed_size: 0
    .kernarg_segment_align: 8
    .kernarg_segment_size: 272
    .language:       OpenCL C
    .language_version:
      - 2
      - 0
    .max_flat_workgroup_size: 256
    .name:           _Z18warp_reduce_kernelIiLj256ELj64EENSt9enable_ifIXsr10test_utilsE35device_test_enabled_for_warp_size_vIXT1_EEEvE4typeEPT_S4_
    .private_segment_fixed_size: 0
    .sgpr_count:     12
    .sgpr_spill_count: 0
    .symbol:         _Z18warp_reduce_kernelIiLj256ELj64EENSt9enable_ifIXsr10test_utilsE35device_test_enabled_for_warp_size_vIXT1_EEEvE4typeEPT_S4_.kd
    .uniform_work_group_size: 1
    .uses_dynamic_stack: false
    .vgpr_count:     6
    .vgpr_spill_count: 0
    .wavefront_size: 64
  - .agpr_count:     0
    .args:
      - .address_space:  global
        .offset:         0
        .size:           8
        .value_kind:     global_buffer
      - .address_space:  global
        .offset:         8
        .size:           8
        .value_kind:     global_buffer
      - .offset:         16
        .size:           4
        .value_kind:     hidden_block_count_x
      - .offset:         20
        .size:           4
        .value_kind:     hidden_block_count_y
      - .offset:         24
        .size:           4
        .value_kind:     hidden_block_count_z
      - .offset:         28
        .size:           2
        .value_kind:     hidden_group_size_x
      - .offset:         30
        .size:           2
        .value_kind:     hidden_group_size_y
      - .offset:         32
        .size:           2
        .value_kind:     hidden_group_size_z
      - .offset:         34
        .size:           2
        .value_kind:     hidden_remainder_x
      - .offset:         36
        .size:           2
        .value_kind:     hidden_remainder_y
      - .offset:         38
        .size:           2
        .value_kind:     hidden_remainder_z
      - .offset:         56
        .size:           8
        .value_kind:     hidden_global_offset_x
      - .offset:         64
        .size:           8
        .value_kind:     hidden_global_offset_y
      - .offset:         72
        .size:           8
        .value_kind:     hidden_global_offset_z
      - .offset:         80
        .size:           2
        .value_kind:     hidden_grid_dims
    .group_segment_fixed_size: 0
    .kernarg_segment_align: 8
    .kernarg_segment_size: 272
    .language:       OpenCL C
    .language_version:
      - 2
      - 0
    .max_flat_workgroup_size: 128
    .name:           _Z18warp_reduce_kernelIiLj128ELj32EENSt9enable_ifIXsr10test_utilsE35device_test_enabled_for_warp_size_vIXT1_EEEvE4typeEPT_S4_
    .private_segment_fixed_size: 0
    .sgpr_count:     12
    .sgpr_spill_count: 0
    .symbol:         _Z18warp_reduce_kernelIiLj128ELj32EENSt9enable_ifIXsr10test_utilsE35device_test_enabled_for_warp_size_vIXT1_EEEvE4typeEPT_S4_.kd
    .uniform_work_group_size: 1
    .uses_dynamic_stack: false
    .vgpr_count:     7
    .vgpr_spill_count: 0
    .wavefront_size: 64
  - .agpr_count:     0
    .args:
      - .address_space:  global
        .offset:         0
        .size:           8
        .value_kind:     global_buffer
      - .address_space:  global
        .offset:         8
        .size:           8
        .value_kind:     global_buffer
      - .offset:         16
        .size:           4
        .value_kind:     hidden_block_count_x
      - .offset:         20
        .size:           4
        .value_kind:     hidden_block_count_y
      - .offset:         24
        .size:           4
        .value_kind:     hidden_block_count_z
      - .offset:         28
        .size:           2
        .value_kind:     hidden_group_size_x
      - .offset:         30
        .size:           2
        .value_kind:     hidden_group_size_y
      - .offset:         32
        .size:           2
        .value_kind:     hidden_group_size_z
      - .offset:         34
        .size:           2
        .value_kind:     hidden_remainder_x
      - .offset:         36
        .size:           2
        .value_kind:     hidden_remainder_y
      - .offset:         38
        .size:           2
        .value_kind:     hidden_remainder_z
      - .offset:         56
        .size:           8
        .value_kind:     hidden_global_offset_x
      - .offset:         64
        .size:           8
        .value_kind:     hidden_global_offset_y
      - .offset:         72
        .size:           8
        .value_kind:     hidden_global_offset_z
      - .offset:         80
        .size:           2
        .value_kind:     hidden_grid_dims
    .group_segment_fixed_size: 0
    .kernarg_segment_align: 8
    .kernarg_segment_size: 272
    .language:       OpenCL C
    .language_version:
      - 2
      - 0
    .max_flat_workgroup_size: 64
    .name:           _Z18warp_reduce_kernelIiLj64ELj16EENSt9enable_ifIXsr10test_utilsE35device_test_enabled_for_warp_size_vIXT1_EEEvE4typeEPT_S4_
    .private_segment_fixed_size: 0
    .sgpr_count:     12
    .sgpr_spill_count: 0
    .symbol:         _Z18warp_reduce_kernelIiLj64ELj16EENSt9enable_ifIXsr10test_utilsE35device_test_enabled_for_warp_size_vIXT1_EEEvE4typeEPT_S4_.kd
    .uniform_work_group_size: 1
    .uses_dynamic_stack: false
    .vgpr_count:     7
    .vgpr_spill_count: 0
    .wavefront_size: 64
  - .agpr_count:     0
    .args:
      - .address_space:  global
        .offset:         0
        .size:           8
        .value_kind:     global_buffer
      - .address_space:  global
        .offset:         8
        .size:           8
        .value_kind:     global_buffer
      - .offset:         16
        .size:           4
        .value_kind:     hidden_block_count_x
      - .offset:         20
        .size:           4
        .value_kind:     hidden_block_count_y
      - .offset:         24
        .size:           4
        .value_kind:     hidden_block_count_z
      - .offset:         28
        .size:           2
        .value_kind:     hidden_group_size_x
      - .offset:         30
        .size:           2
        .value_kind:     hidden_group_size_y
      - .offset:         32
        .size:           2
        .value_kind:     hidden_group_size_z
      - .offset:         34
        .size:           2
        .value_kind:     hidden_remainder_x
      - .offset:         36
        .size:           2
        .value_kind:     hidden_remainder_y
      - .offset:         38
        .size:           2
        .value_kind:     hidden_remainder_z
      - .offset:         56
        .size:           8
        .value_kind:     hidden_global_offset_x
      - .offset:         64
        .size:           8
        .value_kind:     hidden_global_offset_y
      - .offset:         72
        .size:           8
        .value_kind:     hidden_global_offset_z
      - .offset:         80
        .size:           2
        .value_kind:     hidden_grid_dims
    .group_segment_fixed_size: 0
    .kernarg_segment_align: 8
    .kernarg_segment_size: 272
    .language:       OpenCL C
    .language_version:
      - 2
      - 0
    .max_flat_workgroup_size: 32
    .name:           _Z18warp_reduce_kernelIiLj32ELj8EENSt9enable_ifIXsr10test_utilsE35device_test_enabled_for_warp_size_vIXT1_EEEvE4typeEPT_S4_
    .private_segment_fixed_size: 0
    .sgpr_count:     12
    .sgpr_spill_count: 0
    .symbol:         _Z18warp_reduce_kernelIiLj32ELj8EENSt9enable_ifIXsr10test_utilsE35device_test_enabled_for_warp_size_vIXT1_EEEvE4typeEPT_S4_.kd
    .uniform_work_group_size: 1
    .uses_dynamic_stack: false
    .vgpr_count:     7
    .vgpr_spill_count: 0
    .wavefront_size: 64
  - .agpr_count:     0
    .args:
      - .address_space:  global
        .offset:         0
        .size:           8
        .value_kind:     global_buffer
      - .address_space:  global
        .offset:         8
        .size:           8
        .value_kind:     global_buffer
      - .offset:         16
        .size:           4
        .value_kind:     hidden_block_count_x
      - .offset:         20
        .size:           4
        .value_kind:     hidden_block_count_y
      - .offset:         24
        .size:           4
        .value_kind:     hidden_block_count_z
      - .offset:         28
        .size:           2
        .value_kind:     hidden_group_size_x
      - .offset:         30
        .size:           2
        .value_kind:     hidden_group_size_y
      - .offset:         32
        .size:           2
        .value_kind:     hidden_group_size_z
      - .offset:         34
        .size:           2
        .value_kind:     hidden_remainder_x
      - .offset:         36
        .size:           2
        .value_kind:     hidden_remainder_y
      - .offset:         38
        .size:           2
        .value_kind:     hidden_remainder_z
      - .offset:         56
        .size:           8
        .value_kind:     hidden_global_offset_x
      - .offset:         64
        .size:           8
        .value_kind:     hidden_global_offset_y
      - .offset:         72
        .size:           8
        .value_kind:     hidden_global_offset_z
      - .offset:         80
        .size:           2
        .value_kind:     hidden_grid_dims
    .group_segment_fixed_size: 0
    .kernarg_segment_align: 8
    .kernarg_segment_size: 272
    .language:       OpenCL C
    .language_version:
      - 2
      - 0
    .max_flat_workgroup_size: 64
    .name:           _Z18warp_reduce_kernelIiLj64ELj8EENSt9enable_ifIXsr10test_utilsE35device_test_enabled_for_warp_size_vIXT1_EEEvE4typeEPT_S4_
    .private_segment_fixed_size: 0
    .sgpr_count:     12
    .sgpr_spill_count: 0
    .symbol:         _Z18warp_reduce_kernelIiLj64ELj8EENSt9enable_ifIXsr10test_utilsE35device_test_enabled_for_warp_size_vIXT1_EEEvE4typeEPT_S4_.kd
    .uniform_work_group_size: 1
    .uses_dynamic_stack: false
    .vgpr_count:     7
    .vgpr_spill_count: 0
    .wavefront_size: 64
  - .agpr_count:     0
    .args:
      - .address_space:  global
        .offset:         0
        .size:           8
        .value_kind:     global_buffer
      - .address_space:  global
        .offset:         8
        .size:           8
        .value_kind:     global_buffer
      - .offset:         16
        .size:           4
        .value_kind:     hidden_block_count_x
      - .offset:         20
        .size:           4
        .value_kind:     hidden_block_count_y
      - .offset:         24
        .size:           4
        .value_kind:     hidden_block_count_z
      - .offset:         28
        .size:           2
        .value_kind:     hidden_group_size_x
      - .offset:         30
        .size:           2
        .value_kind:     hidden_group_size_y
      - .offset:         32
        .size:           2
        .value_kind:     hidden_group_size_z
      - .offset:         34
        .size:           2
        .value_kind:     hidden_remainder_x
      - .offset:         36
        .size:           2
        .value_kind:     hidden_remainder_y
      - .offset:         38
        .size:           2
        .value_kind:     hidden_remainder_z
      - .offset:         56
        .size:           8
        .value_kind:     hidden_global_offset_x
      - .offset:         64
        .size:           8
        .value_kind:     hidden_global_offset_y
      - .offset:         72
        .size:           8
        .value_kind:     hidden_global_offset_z
      - .offset:         80
        .size:           2
        .value_kind:     hidden_grid_dims
    .group_segment_fixed_size: 0
    .kernarg_segment_align: 8
    .kernarg_segment_size: 272
    .language:       OpenCL C
    .language_version:
      - 2
      - 0
    .max_flat_workgroup_size: 32
    .name:           _Z18warp_reduce_kernelIiLj32ELj4EENSt9enable_ifIXsr10test_utilsE35device_test_enabled_for_warp_size_vIXT1_EEEvE4typeEPT_S4_
    .private_segment_fixed_size: 0
    .sgpr_count:     12
    .sgpr_spill_count: 0
    .symbol:         _Z18warp_reduce_kernelIiLj32ELj4EENSt9enable_ifIXsr10test_utilsE35device_test_enabled_for_warp_size_vIXT1_EEEvE4typeEPT_S4_.kd
    .uniform_work_group_size: 1
    .uses_dynamic_stack: false
    .vgpr_count:     6
    .vgpr_spill_count: 0
    .wavefront_size: 64
  - .agpr_count:     0
    .args:
      - .address_space:  global
        .offset:         0
        .size:           8
        .value_kind:     global_buffer
      - .address_space:  global
        .offset:         8
        .size:           8
        .value_kind:     global_buffer
      - .offset:         16
        .size:           4
        .value_kind:     hidden_block_count_x
      - .offset:         20
        .size:           4
        .value_kind:     hidden_block_count_y
      - .offset:         24
        .size:           4
        .value_kind:     hidden_block_count_z
      - .offset:         28
        .size:           2
        .value_kind:     hidden_group_size_x
      - .offset:         30
        .size:           2
        .value_kind:     hidden_group_size_y
      - .offset:         32
        .size:           2
        .value_kind:     hidden_group_size_z
      - .offset:         34
        .size:           2
        .value_kind:     hidden_remainder_x
      - .offset:         36
        .size:           2
        .value_kind:     hidden_remainder_y
      - .offset:         38
        .size:           2
        .value_kind:     hidden_remainder_z
      - .offset:         56
        .size:           8
        .value_kind:     hidden_global_offset_x
      - .offset:         64
        .size:           8
        .value_kind:     hidden_global_offset_y
      - .offset:         72
        .size:           8
        .value_kind:     hidden_global_offset_z
      - .offset:         80
        .size:           2
        .value_kind:     hidden_grid_dims
    .group_segment_fixed_size: 0
    .kernarg_segment_align: 8
    .kernarg_segment_size: 272
    .language:       OpenCL C
    .language_version:
      - 2
      - 0
    .max_flat_workgroup_size: 64
    .name:           _Z18warp_reduce_kernelIiLj64ELj4EENSt9enable_ifIXsr10test_utilsE35device_test_enabled_for_warp_size_vIXT1_EEEvE4typeEPT_S4_
    .private_segment_fixed_size: 0
    .sgpr_count:     12
    .sgpr_spill_count: 0
    .symbol:         _Z18warp_reduce_kernelIiLj64ELj4EENSt9enable_ifIXsr10test_utilsE35device_test_enabled_for_warp_size_vIXT1_EEEvE4typeEPT_S4_.kd
    .uniform_work_group_size: 1
    .uses_dynamic_stack: false
    .vgpr_count:     6
    .vgpr_spill_count: 0
    .wavefront_size: 64
  - .agpr_count:     0
    .args:
      - .address_space:  global
        .offset:         0
        .size:           8
        .value_kind:     global_buffer
      - .address_space:  global
        .offset:         8
        .size:           8
        .value_kind:     global_buffer
      - .offset:         16
        .size:           4
        .value_kind:     hidden_block_count_x
      - .offset:         20
        .size:           4
        .value_kind:     hidden_block_count_y
      - .offset:         24
        .size:           4
        .value_kind:     hidden_block_count_z
      - .offset:         28
        .size:           2
        .value_kind:     hidden_group_size_x
      - .offset:         30
        .size:           2
        .value_kind:     hidden_group_size_y
      - .offset:         32
        .size:           2
        .value_kind:     hidden_group_size_z
      - .offset:         34
        .size:           2
        .value_kind:     hidden_remainder_x
      - .offset:         36
        .size:           2
        .value_kind:     hidden_remainder_y
      - .offset:         38
        .size:           2
        .value_kind:     hidden_remainder_z
      - .offset:         56
        .size:           8
        .value_kind:     hidden_global_offset_x
      - .offset:         64
        .size:           8
        .value_kind:     hidden_global_offset_y
      - .offset:         72
        .size:           8
        .value_kind:     hidden_global_offset_z
      - .offset:         80
        .size:           2
        .value_kind:     hidden_grid_dims
    .group_segment_fixed_size: 0
    .kernarg_segment_align: 8
    .kernarg_segment_size: 272
    .language:       OpenCL C
    .language_version:
      - 2
      - 0
    .max_flat_workgroup_size: 32
    .name:           _Z18warp_reduce_kernelIiLj32ELj2EENSt9enable_ifIXsr10test_utilsE35device_test_enabled_for_warp_size_vIXT1_EEEvE4typeEPT_S4_
    .private_segment_fixed_size: 0
    .sgpr_count:     12
    .sgpr_spill_count: 0
    .symbol:         _Z18warp_reduce_kernelIiLj32ELj2EENSt9enable_ifIXsr10test_utilsE35device_test_enabled_for_warp_size_vIXT1_EEEvE4typeEPT_S4_.kd
    .uniform_work_group_size: 1
    .uses_dynamic_stack: false
    .vgpr_count:     6
    .vgpr_spill_count: 0
    .wavefront_size: 64
  - .agpr_count:     0
    .args:
      - .address_space:  global
        .offset:         0
        .size:           8
        .value_kind:     global_buffer
      - .address_space:  global
        .offset:         8
        .size:           8
        .value_kind:     global_buffer
      - .offset:         16
        .size:           4
        .value_kind:     hidden_block_count_x
      - .offset:         20
        .size:           4
        .value_kind:     hidden_block_count_y
      - .offset:         24
        .size:           4
        .value_kind:     hidden_block_count_z
      - .offset:         28
        .size:           2
        .value_kind:     hidden_group_size_x
      - .offset:         30
        .size:           2
        .value_kind:     hidden_group_size_y
      - .offset:         32
        .size:           2
        .value_kind:     hidden_group_size_z
      - .offset:         34
        .size:           2
        .value_kind:     hidden_remainder_x
      - .offset:         36
        .size:           2
        .value_kind:     hidden_remainder_y
      - .offset:         38
        .size:           2
        .value_kind:     hidden_remainder_z
      - .offset:         56
        .size:           8
        .value_kind:     hidden_global_offset_x
      - .offset:         64
        .size:           8
        .value_kind:     hidden_global_offset_y
      - .offset:         72
        .size:           8
        .value_kind:     hidden_global_offset_z
      - .offset:         80
        .size:           2
        .value_kind:     hidden_grid_dims
    .group_segment_fixed_size: 0
    .kernarg_segment_align: 8
    .kernarg_segment_size: 272
    .language:       OpenCL C
    .language_version:
      - 2
      - 0
    .max_flat_workgroup_size: 64
    .name:           _Z18warp_reduce_kernelIiLj64ELj2EENSt9enable_ifIXsr10test_utilsE35device_test_enabled_for_warp_size_vIXT1_EEEvE4typeEPT_S4_
    .private_segment_fixed_size: 0
    .sgpr_count:     12
    .sgpr_spill_count: 0
    .symbol:         _Z18warp_reduce_kernelIiLj64ELj2EENSt9enable_ifIXsr10test_utilsE35device_test_enabled_for_warp_size_vIXT1_EEEvE4typeEPT_S4_.kd
    .uniform_work_group_size: 1
    .uses_dynamic_stack: false
    .vgpr_count:     6
    .vgpr_spill_count: 0
    .wavefront_size: 64
  - .agpr_count:     0
    .args:
      - .address_space:  global
        .offset:         0
        .size:           8
        .value_kind:     global_buffer
      - .address_space:  global
        .offset:         8
        .size:           8
        .value_kind:     global_buffer
      - .offset:         16
        .size:           4
        .value_kind:     hidden_block_count_x
      - .offset:         20
        .size:           4
        .value_kind:     hidden_block_count_y
      - .offset:         24
        .size:           4
        .value_kind:     hidden_block_count_z
      - .offset:         28
        .size:           2
        .value_kind:     hidden_group_size_x
      - .offset:         30
        .size:           2
        .value_kind:     hidden_group_size_y
      - .offset:         32
        .size:           2
        .value_kind:     hidden_group_size_z
      - .offset:         34
        .size:           2
        .value_kind:     hidden_remainder_x
      - .offset:         36
        .size:           2
        .value_kind:     hidden_remainder_y
      - .offset:         38
        .size:           2
        .value_kind:     hidden_remainder_z
      - .offset:         56
        .size:           8
        .value_kind:     hidden_global_offset_x
      - .offset:         64
        .size:           8
        .value_kind:     hidden_global_offset_y
      - .offset:         72
        .size:           8
        .value_kind:     hidden_global_offset_z
      - .offset:         80
        .size:           2
        .value_kind:     hidden_grid_dims
    .group_segment_fixed_size: 0
    .kernarg_segment_align: 8
    .kernarg_segment_size: 272
    .language:       OpenCL C
    .language_version:
      - 2
      - 0
    .max_flat_workgroup_size: 32
    .name:           _Z18warp_reduce_kernelIiLj32ELj1EENSt9enable_ifIXsr10test_utilsE35device_test_enabled_for_warp_size_vIXT1_EEEvE4typeEPT_S4_
    .private_segment_fixed_size: 0
    .sgpr_count:     12
    .sgpr_spill_count: 0
    .symbol:         _Z18warp_reduce_kernelIiLj32ELj1EENSt9enable_ifIXsr10test_utilsE35device_test_enabled_for_warp_size_vIXT1_EEEvE4typeEPT_S4_.kd
    .uniform_work_group_size: 1
    .uses_dynamic_stack: false
    .vgpr_count:     4
    .vgpr_spill_count: 0
    .wavefront_size: 64
  - .agpr_count:     0
    .args:
      - .address_space:  global
        .offset:         0
        .size:           8
        .value_kind:     global_buffer
      - .address_space:  global
        .offset:         8
        .size:           8
        .value_kind:     global_buffer
      - .offset:         16
        .size:           4
        .value_kind:     hidden_block_count_x
      - .offset:         20
        .size:           4
        .value_kind:     hidden_block_count_y
      - .offset:         24
        .size:           4
        .value_kind:     hidden_block_count_z
      - .offset:         28
        .size:           2
        .value_kind:     hidden_group_size_x
      - .offset:         30
        .size:           2
        .value_kind:     hidden_group_size_y
      - .offset:         32
        .size:           2
        .value_kind:     hidden_group_size_z
      - .offset:         34
        .size:           2
        .value_kind:     hidden_remainder_x
      - .offset:         36
        .size:           2
        .value_kind:     hidden_remainder_y
      - .offset:         38
        .size:           2
        .value_kind:     hidden_remainder_z
      - .offset:         56
        .size:           8
        .value_kind:     hidden_global_offset_x
      - .offset:         64
        .size:           8
        .value_kind:     hidden_global_offset_y
      - .offset:         72
        .size:           8
        .value_kind:     hidden_global_offset_z
      - .offset:         80
        .size:           2
        .value_kind:     hidden_grid_dims
    .group_segment_fixed_size: 0
    .kernarg_segment_align: 8
    .kernarg_segment_size: 272
    .language:       OpenCL C
    .language_version:
      - 2
      - 0
    .max_flat_workgroup_size: 64
    .name:           _Z18warp_reduce_kernelIiLj64ELj1EENSt9enable_ifIXsr10test_utilsE35device_test_enabled_for_warp_size_vIXT1_EEEvE4typeEPT_S4_
    .private_segment_fixed_size: 0
    .sgpr_count:     12
    .sgpr_spill_count: 0
    .symbol:         _Z18warp_reduce_kernelIiLj64ELj1EENSt9enable_ifIXsr10test_utilsE35device_test_enabled_for_warp_size_vIXT1_EEEvE4typeEPT_S4_.kd
    .uniform_work_group_size: 1
    .uses_dynamic_stack: false
    .vgpr_count:     4
    .vgpr_spill_count: 0
    .wavefront_size: 64
  - .agpr_count:     0
    .args:
      - .address_space:  global
        .offset:         0
        .size:           8
        .value_kind:     global_buffer
      - .address_space:  global
        .offset:         8
        .size:           8
        .value_kind:     global_buffer
      - .offset:         16
        .size:           4
        .value_kind:     by_value
      - .offset:         24
        .size:           4
        .value_kind:     hidden_block_count_x
      - .offset:         28
        .size:           4
        .value_kind:     hidden_block_count_y
      - .offset:         32
        .size:           4
        .value_kind:     hidden_block_count_z
      - .offset:         36
        .size:           2
        .value_kind:     hidden_group_size_x
      - .offset:         38
        .size:           2
        .value_kind:     hidden_group_size_y
      - .offset:         40
        .size:           2
        .value_kind:     hidden_group_size_z
      - .offset:         42
        .size:           2
        .value_kind:     hidden_remainder_x
      - .offset:         44
        .size:           2
        .value_kind:     hidden_remainder_y
      - .offset:         46
        .size:           2
        .value_kind:     hidden_remainder_z
      - .offset:         64
        .size:           8
        .value_kind:     hidden_global_offset_x
      - .offset:         72
        .size:           8
        .value_kind:     hidden_global_offset_y
      - .offset:         80
        .size:           8
        .value_kind:     hidden_global_offset_z
      - .offset:         88
        .size:           2
        .value_kind:     hidden_grid_dims
    .group_segment_fixed_size: 244
    .kernarg_segment_align: 8
    .kernarg_segment_size: 280
    .language:       OpenCL C
    .language_version:
      - 2
      - 0
    .max_flat_workgroup_size: 1
    .name:           _Z24warp_reduce_valid_kernelIfLj1ELj61EENSt9enable_ifIXsr10test_utilsE35device_test_enabled_for_warp_size_vIXT1_EEEvE4typeEPT_S4_i
    .private_segment_fixed_size: 0
    .sgpr_count:     14
    .sgpr_spill_count: 0
    .symbol:         _Z24warp_reduce_valid_kernelIfLj1ELj61EENSt9enable_ifIXsr10test_utilsE35device_test_enabled_for_warp_size_vIXT1_EEEvE4typeEPT_S4_i.kd
    .uniform_work_group_size: 1
    .uses_dynamic_stack: false
    .vgpr_count:     4
    .vgpr_spill_count: 0
    .wavefront_size: 64
  - .agpr_count:     0
    .args:
      - .address_space:  global
        .offset:         0
        .size:           8
        .value_kind:     global_buffer
      - .address_space:  global
        .offset:         8
        .size:           8
        .value_kind:     global_buffer
      - .offset:         16
        .size:           4
        .value_kind:     by_value
      - .offset:         24
        .size:           4
        .value_kind:     hidden_block_count_x
      - .offset:         28
        .size:           4
        .value_kind:     hidden_block_count_y
      - .offset:         32
        .size:           4
        .value_kind:     hidden_block_count_z
      - .offset:         36
        .size:           2
        .value_kind:     hidden_group_size_x
      - .offset:         38
        .size:           2
        .value_kind:     hidden_group_size_y
      - .offset:         40
        .size:           2
        .value_kind:     hidden_group_size_z
      - .offset:         42
        .size:           2
        .value_kind:     hidden_remainder_x
      - .offset:         44
        .size:           2
        .value_kind:     hidden_remainder_y
      - .offset:         46
        .size:           2
        .value_kind:     hidden_remainder_z
      - .offset:         64
        .size:           8
        .value_kind:     hidden_global_offset_x
      - .offset:         72
        .size:           8
        .value_kind:     hidden_global_offset_y
      - .offset:         80
        .size:           8
        .value_kind:     hidden_global_offset_z
      - .offset:         88
        .size:           2
        .value_kind:     hidden_grid_dims
    .group_segment_fixed_size: 244
    .kernarg_segment_align: 8
    .kernarg_segment_size: 280
    .language:       OpenCL C
    .language_version:
      - 2
      - 0
    .max_flat_workgroup_size: 61
    .name:           _Z24warp_reduce_valid_kernelIfLj61ELj61EENSt9enable_ifIXsr10test_utilsE35device_test_enabled_for_warp_size_vIXT1_EEEvE4typeEPT_S4_i
    .private_segment_fixed_size: 0
    .sgpr_count:     13
    .sgpr_spill_count: 0
    .symbol:         _Z24warp_reduce_valid_kernelIfLj61ELj61EENSt9enable_ifIXsr10test_utilsE35device_test_enabled_for_warp_size_vIXT1_EEEvE4typeEPT_S4_i.kd
    .uniform_work_group_size: 1
    .uses_dynamic_stack: false
    .vgpr_count:     8
    .vgpr_spill_count: 0
    .wavefront_size: 64
  - .agpr_count:     0
    .args:
      - .address_space:  global
        .offset:         0
        .size:           8
        .value_kind:     global_buffer
      - .address_space:  global
        .offset:         8
        .size:           8
        .value_kind:     global_buffer
      - .offset:         16
        .size:           4
        .value_kind:     by_value
      - .offset:         24
        .size:           4
        .value_kind:     hidden_block_count_x
      - .offset:         28
        .size:           4
        .value_kind:     hidden_block_count_y
      - .offset:         32
        .size:           4
        .value_kind:     hidden_block_count_z
      - .offset:         36
        .size:           2
        .value_kind:     hidden_group_size_x
      - .offset:         38
        .size:           2
        .value_kind:     hidden_group_size_y
      - .offset:         40
        .size:           2
        .value_kind:     hidden_group_size_z
      - .offset:         42
        .size:           2
        .value_kind:     hidden_remainder_x
      - .offset:         44
        .size:           2
        .value_kind:     hidden_remainder_y
      - .offset:         46
        .size:           2
        .value_kind:     hidden_remainder_z
      - .offset:         64
        .size:           8
        .value_kind:     hidden_global_offset_x
      - .offset:         72
        .size:           8
        .value_kind:     hidden_global_offset_y
      - .offset:         80
        .size:           8
        .value_kind:     hidden_global_offset_z
      - .offset:         88
        .size:           2
        .value_kind:     hidden_grid_dims
    .group_segment_fixed_size: 148
    .kernarg_segment_align: 8
    .kernarg_segment_size: 280
    .language:       OpenCL C
    .language_version:
      - 2
      - 0
    .max_flat_workgroup_size: 1
    .name:           _Z24warp_reduce_valid_kernelIfLj1ELj37EENSt9enable_ifIXsr10test_utilsE35device_test_enabled_for_warp_size_vIXT1_EEEvE4typeEPT_S4_i
    .private_segment_fixed_size: 0
    .sgpr_count:     14
    .sgpr_spill_count: 0
    .symbol:         _Z24warp_reduce_valid_kernelIfLj1ELj37EENSt9enable_ifIXsr10test_utilsE35device_test_enabled_for_warp_size_vIXT1_EEEvE4typeEPT_S4_i.kd
    .uniform_work_group_size: 1
    .uses_dynamic_stack: false
    .vgpr_count:     4
    .vgpr_spill_count: 0
    .wavefront_size: 64
  - .agpr_count:     0
    .args:
      - .address_space:  global
        .offset:         0
        .size:           8
        .value_kind:     global_buffer
      - .address_space:  global
        .offset:         8
        .size:           8
        .value_kind:     global_buffer
      - .offset:         16
        .size:           4
        .value_kind:     by_value
      - .offset:         24
        .size:           4
        .value_kind:     hidden_block_count_x
      - .offset:         28
        .size:           4
        .value_kind:     hidden_block_count_y
      - .offset:         32
        .size:           4
        .value_kind:     hidden_block_count_z
      - .offset:         36
        .size:           2
        .value_kind:     hidden_group_size_x
      - .offset:         38
        .size:           2
        .value_kind:     hidden_group_size_y
      - .offset:         40
        .size:           2
        .value_kind:     hidden_group_size_z
      - .offset:         42
        .size:           2
        .value_kind:     hidden_remainder_x
      - .offset:         44
        .size:           2
        .value_kind:     hidden_remainder_y
      - .offset:         46
        .size:           2
        .value_kind:     hidden_remainder_z
      - .offset:         64
        .size:           8
        .value_kind:     hidden_global_offset_x
      - .offset:         72
        .size:           8
        .value_kind:     hidden_global_offset_y
      - .offset:         80
        .size:           8
        .value_kind:     hidden_global_offset_z
      - .offset:         88
        .size:           2
        .value_kind:     hidden_grid_dims
    .group_segment_fixed_size: 148
    .kernarg_segment_align: 8
    .kernarg_segment_size: 280
    .language:       OpenCL C
    .language_version:
      - 2
      - 0
    .max_flat_workgroup_size: 37
    .name:           _Z24warp_reduce_valid_kernelIfLj37ELj37EENSt9enable_ifIXsr10test_utilsE35device_test_enabled_for_warp_size_vIXT1_EEEvE4typeEPT_S4_i
    .private_segment_fixed_size: 0
    .sgpr_count:     13
    .sgpr_spill_count: 0
    .symbol:         _Z24warp_reduce_valid_kernelIfLj37ELj37EENSt9enable_ifIXsr10test_utilsE35device_test_enabled_for_warp_size_vIXT1_EEEvE4typeEPT_S4_i.kd
    .uniform_work_group_size: 1
    .uses_dynamic_stack: false
    .vgpr_count:     8
    .vgpr_spill_count: 0
    .wavefront_size: 64
  - .agpr_count:     0
    .args:
      - .address_space:  global
        .offset:         0
        .size:           8
        .value_kind:     global_buffer
      - .address_space:  global
        .offset:         8
        .size:           8
        .value_kind:     global_buffer
      - .offset:         16
        .size:           4
        .value_kind:     by_value
      - .offset:         24
        .size:           4
        .value_kind:     hidden_block_count_x
      - .offset:         28
        .size:           4
        .value_kind:     hidden_block_count_y
      - .offset:         32
        .size:           4
        .value_kind:     hidden_block_count_z
      - .offset:         36
        .size:           2
        .value_kind:     hidden_group_size_x
      - .offset:         38
        .size:           2
        .value_kind:     hidden_group_size_y
      - .offset:         40
        .size:           2
        .value_kind:     hidden_group_size_z
      - .offset:         42
        .size:           2
        .value_kind:     hidden_remainder_x
      - .offset:         44
        .size:           2
        .value_kind:     hidden_remainder_y
      - .offset:         46
        .size:           2
        .value_kind:     hidden_remainder_z
      - .offset:         64
        .size:           8
        .value_kind:     hidden_global_offset_x
      - .offset:         72
        .size:           8
        .value_kind:     hidden_global_offset_y
      - .offset:         80
        .size:           8
        .value_kind:     hidden_global_offset_z
      - .offset:         88
        .size:           2
        .value_kind:     hidden_grid_dims
    .group_segment_fixed_size: 120
    .kernarg_segment_align: 8
    .kernarg_segment_size: 280
    .language:       OpenCL C
    .language_version:
      - 2
      - 0
    .max_flat_workgroup_size: 30
    .name:           _Z24warp_reduce_valid_kernelIfLj30ELj15EENSt9enable_ifIXsr10test_utilsE35device_test_enabled_for_warp_size_vIXT1_EEEvE4typeEPT_S4_i
    .private_segment_fixed_size: 0
    .sgpr_count:     13
    .sgpr_spill_count: 0
    .symbol:         _Z24warp_reduce_valid_kernelIfLj30ELj15EENSt9enable_ifIXsr10test_utilsE35device_test_enabled_for_warp_size_vIXT1_EEEvE4typeEPT_S4_i.kd
    .uniform_work_group_size: 1
    .uses_dynamic_stack: false
    .vgpr_count:     8
    .vgpr_spill_count: 0
    .wavefront_size: 64
  - .agpr_count:     0
    .args:
      - .address_space:  global
        .offset:         0
        .size:           8
        .value_kind:     global_buffer
      - .address_space:  global
        .offset:         8
        .size:           8
        .value_kind:     global_buffer
      - .offset:         16
        .size:           4
        .value_kind:     by_value
      - .offset:         24
        .size:           4
        .value_kind:     hidden_block_count_x
      - .offset:         28
        .size:           4
        .value_kind:     hidden_block_count_y
      - .offset:         32
        .size:           4
        .value_kind:     hidden_block_count_z
      - .offset:         36
        .size:           2
        .value_kind:     hidden_group_size_x
      - .offset:         38
        .size:           2
        .value_kind:     hidden_group_size_y
      - .offset:         40
        .size:           2
        .value_kind:     hidden_group_size_z
      - .offset:         42
        .size:           2
        .value_kind:     hidden_remainder_x
      - .offset:         44
        .size:           2
        .value_kind:     hidden_remainder_y
      - .offset:         46
        .size:           2
        .value_kind:     hidden_remainder_z
      - .offset:         64
        .size:           8
        .value_kind:     hidden_global_offset_x
      - .offset:         72
        .size:           8
        .value_kind:     hidden_global_offset_y
      - .offset:         80
        .size:           8
        .value_kind:     hidden_global_offset_z
      - .offset:         88
        .size:           2
        .value_kind:     hidden_grid_dims
    .group_segment_fixed_size: 240
    .kernarg_segment_align: 8
    .kernarg_segment_size: 280
    .language:       OpenCL C
    .language_version:
      - 2
      - 0
    .max_flat_workgroup_size: 60
    .name:           _Z24warp_reduce_valid_kernelIfLj60ELj15EENSt9enable_ifIXsr10test_utilsE35device_test_enabled_for_warp_size_vIXT1_EEEvE4typeEPT_S4_i
    .private_segment_fixed_size: 0
    .sgpr_count:     13
    .sgpr_spill_count: 0
    .symbol:         _Z24warp_reduce_valid_kernelIfLj60ELj15EENSt9enable_ifIXsr10test_utilsE35device_test_enabled_for_warp_size_vIXT1_EEEvE4typeEPT_S4_i.kd
    .uniform_work_group_size: 1
    .uses_dynamic_stack: false
    .vgpr_count:     8
    .vgpr_spill_count: 0
    .wavefront_size: 64
  - .agpr_count:     0
    .args:
      - .address_space:  global
        .offset:         0
        .size:           8
        .value_kind:     global_buffer
      - .address_space:  global
        .offset:         8
        .size:           8
        .value_kind:     global_buffer
      - .offset:         16
        .size:           4
        .value_kind:     by_value
      - .offset:         24
        .size:           4
        .value_kind:     hidden_block_count_x
      - .offset:         28
        .size:           4
        .value_kind:     hidden_block_count_y
      - .offset:         32
        .size:           4
        .value_kind:     hidden_block_count_z
      - .offset:         36
        .size:           2
        .value_kind:     hidden_group_size_x
      - .offset:         38
        .size:           2
        .value_kind:     hidden_group_size_y
      - .offset:         40
        .size:           2
        .value_kind:     hidden_group_size_z
      - .offset:         42
        .size:           2
        .value_kind:     hidden_remainder_x
      - .offset:         44
        .size:           2
        .value_kind:     hidden_remainder_y
      - .offset:         46
        .size:           2
        .value_kind:     hidden_remainder_z
      - .offset:         64
        .size:           8
        .value_kind:     hidden_global_offset_x
      - .offset:         72
        .size:           8
        .value_kind:     hidden_global_offset_y
      - .offset:         80
        .size:           8
        .value_kind:     hidden_global_offset_z
      - .offset:         88
        .size:           2
        .value_kind:     hidden_grid_dims
    .group_segment_fixed_size: 112
    .kernarg_segment_align: 8
    .kernarg_segment_size: 280
    .language:       OpenCL C
    .language_version:
      - 2
      - 0
    .max_flat_workgroup_size: 28
    .name:           _Z24warp_reduce_valid_kernelIfLj28ELj7EENSt9enable_ifIXsr10test_utilsE35device_test_enabled_for_warp_size_vIXT1_EEEvE4typeEPT_S4_i
    .private_segment_fixed_size: 0
    .sgpr_count:     13
    .sgpr_spill_count: 0
    .symbol:         _Z24warp_reduce_valid_kernelIfLj28ELj7EENSt9enable_ifIXsr10test_utilsE35device_test_enabled_for_warp_size_vIXT1_EEEvE4typeEPT_S4_i.kd
    .uniform_work_group_size: 1
    .uses_dynamic_stack: false
    .vgpr_count:     8
    .vgpr_spill_count: 0
    .wavefront_size: 64
  - .agpr_count:     0
    .args:
      - .address_space:  global
        .offset:         0
        .size:           8
        .value_kind:     global_buffer
      - .address_space:  global
        .offset:         8
        .size:           8
        .value_kind:     global_buffer
      - .offset:         16
        .size:           4
        .value_kind:     by_value
      - .offset:         24
        .size:           4
        .value_kind:     hidden_block_count_x
      - .offset:         28
        .size:           4
        .value_kind:     hidden_block_count_y
      - .offset:         32
        .size:           4
        .value_kind:     hidden_block_count_z
      - .offset:         36
        .size:           2
        .value_kind:     hidden_group_size_x
      - .offset:         38
        .size:           2
        .value_kind:     hidden_group_size_y
      - .offset:         40
        .size:           2
        .value_kind:     hidden_group_size_z
      - .offset:         42
        .size:           2
        .value_kind:     hidden_remainder_x
      - .offset:         44
        .size:           2
        .value_kind:     hidden_remainder_y
      - .offset:         46
        .size:           2
        .value_kind:     hidden_remainder_z
      - .offset:         64
        .size:           8
        .value_kind:     hidden_global_offset_x
      - .offset:         72
        .size:           8
        .value_kind:     hidden_global_offset_y
      - .offset:         80
        .size:           8
        .value_kind:     hidden_global_offset_z
      - .offset:         88
        .size:           2
        .value_kind:     hidden_grid_dims
    .group_segment_fixed_size: 252
    .kernarg_segment_align: 8
    .kernarg_segment_size: 280
    .language:       OpenCL C
    .language_version:
      - 2
      - 0
    .max_flat_workgroup_size: 63
    .name:           _Z24warp_reduce_valid_kernelIfLj63ELj7EENSt9enable_ifIXsr10test_utilsE35device_test_enabled_for_warp_size_vIXT1_EEEvE4typeEPT_S4_i
    .private_segment_fixed_size: 0
    .sgpr_count:     13
    .sgpr_spill_count: 0
    .symbol:         _Z24warp_reduce_valid_kernelIfLj63ELj7EENSt9enable_ifIXsr10test_utilsE35device_test_enabled_for_warp_size_vIXT1_EEEvE4typeEPT_S4_i.kd
    .uniform_work_group_size: 1
    .uses_dynamic_stack: false
    .vgpr_count:     8
    .vgpr_spill_count: 0
    .wavefront_size: 64
  - .agpr_count:     0
    .args:
      - .address_space:  global
        .offset:         0
        .size:           8
        .value_kind:     global_buffer
      - .address_space:  global
        .offset:         8
        .size:           8
        .value_kind:     global_buffer
      - .offset:         16
        .size:           4
        .value_kind:     by_value
      - .offset:         24
        .size:           4
        .value_kind:     hidden_block_count_x
      - .offset:         28
        .size:           4
        .value_kind:     hidden_block_count_y
      - .offset:         32
        .size:           4
        .value_kind:     hidden_block_count_z
      - .offset:         36
        .size:           2
        .value_kind:     hidden_group_size_x
      - .offset:         38
        .size:           2
        .value_kind:     hidden_group_size_y
      - .offset:         40
        .size:           2
        .value_kind:     hidden_group_size_z
      - .offset:         42
        .size:           2
        .value_kind:     hidden_remainder_x
      - .offset:         44
        .size:           2
        .value_kind:     hidden_remainder_y
      - .offset:         46
        .size:           2
        .value_kind:     hidden_remainder_z
      - .offset:         64
        .size:           8
        .value_kind:     hidden_global_offset_x
      - .offset:         72
        .size:           8
        .value_kind:     hidden_global_offset_y
      - .offset:         80
        .size:           8
        .value_kind:     hidden_global_offset_z
      - .offset:         88
        .size:           2
        .value_kind:     hidden_grid_dims
    .group_segment_fixed_size: 120
    .kernarg_segment_align: 8
    .kernarg_segment_size: 280
    .language:       OpenCL C
    .language_version:
      - 2
      - 0
    .max_flat_workgroup_size: 30
    .name:           _Z24warp_reduce_valid_kernelIfLj30ELj3EENSt9enable_ifIXsr10test_utilsE35device_test_enabled_for_warp_size_vIXT1_EEEvE4typeEPT_S4_i
    .private_segment_fixed_size: 0
    .sgpr_count:     13
    .sgpr_spill_count: 0
    .symbol:         _Z24warp_reduce_valid_kernelIfLj30ELj3EENSt9enable_ifIXsr10test_utilsE35device_test_enabled_for_warp_size_vIXT1_EEEvE4typeEPT_S4_i.kd
    .uniform_work_group_size: 1
    .uses_dynamic_stack: false
    .vgpr_count:     8
    .vgpr_spill_count: 0
    .wavefront_size: 64
  - .agpr_count:     0
    .args:
      - .address_space:  global
        .offset:         0
        .size:           8
        .value_kind:     global_buffer
      - .address_space:  global
        .offset:         8
        .size:           8
        .value_kind:     global_buffer
      - .offset:         16
        .size:           4
        .value_kind:     by_value
      - .offset:         24
        .size:           4
        .value_kind:     hidden_block_count_x
      - .offset:         28
        .size:           4
        .value_kind:     hidden_block_count_y
      - .offset:         32
        .size:           4
        .value_kind:     hidden_block_count_z
      - .offset:         36
        .size:           2
        .value_kind:     hidden_group_size_x
      - .offset:         38
        .size:           2
        .value_kind:     hidden_group_size_y
      - .offset:         40
        .size:           2
        .value_kind:     hidden_group_size_z
      - .offset:         42
        .size:           2
        .value_kind:     hidden_remainder_x
      - .offset:         44
        .size:           2
        .value_kind:     hidden_remainder_y
      - .offset:         46
        .size:           2
        .value_kind:     hidden_remainder_z
      - .offset:         64
        .size:           8
        .value_kind:     hidden_global_offset_x
      - .offset:         72
        .size:           8
        .value_kind:     hidden_global_offset_y
      - .offset:         80
        .size:           8
        .value_kind:     hidden_global_offset_z
      - .offset:         88
        .size:           2
        .value_kind:     hidden_grid_dims
    .group_segment_fixed_size: 252
    .kernarg_segment_align: 8
    .kernarg_segment_size: 280
    .language:       OpenCL C
    .language_version:
      - 2
      - 0
    .max_flat_workgroup_size: 63
    .name:           _Z24warp_reduce_valid_kernelIfLj63ELj3EENSt9enable_ifIXsr10test_utilsE35device_test_enabled_for_warp_size_vIXT1_EEEvE4typeEPT_S4_i
    .private_segment_fixed_size: 0
    .sgpr_count:     13
    .sgpr_spill_count: 0
    .symbol:         _Z24warp_reduce_valid_kernelIfLj63ELj3EENSt9enable_ifIXsr10test_utilsE35device_test_enabled_for_warp_size_vIXT1_EEEvE4typeEPT_S4_i.kd
    .uniform_work_group_size: 1
    .uses_dynamic_stack: false
    .vgpr_count:     8
    .vgpr_spill_count: 0
    .wavefront_size: 64
  - .agpr_count:     0
    .args:
      - .address_space:  global
        .offset:         0
        .size:           8
        .value_kind:     global_buffer
      - .address_space:  global
        .offset:         8
        .size:           8
        .value_kind:     global_buffer
      - .offset:         16
        .size:           4
        .value_kind:     by_value
      - .offset:         24
        .size:           4
        .value_kind:     hidden_block_count_x
      - .offset:         28
        .size:           4
        .value_kind:     hidden_block_count_y
      - .offset:         32
        .size:           4
        .value_kind:     hidden_block_count_z
      - .offset:         36
        .size:           2
        .value_kind:     hidden_group_size_x
      - .offset:         38
        .size:           2
        .value_kind:     hidden_group_size_y
      - .offset:         40
        .size:           2
        .value_kind:     hidden_group_size_z
      - .offset:         42
        .size:           2
        .value_kind:     hidden_remainder_x
      - .offset:         44
        .size:           2
        .value_kind:     hidden_remainder_y
      - .offset:         46
        .size:           2
        .value_kind:     hidden_remainder_z
      - .offset:         64
        .size:           8
        .value_kind:     hidden_global_offset_x
      - .offset:         72
        .size:           8
        .value_kind:     hidden_global_offset_y
      - .offset:         80
        .size:           8
        .value_kind:     hidden_global_offset_z
      - .offset:         88
        .size:           2
        .value_kind:     hidden_grid_dims
    .group_segment_fixed_size: 244
    .kernarg_segment_align: 8
    .kernarg_segment_size: 280
    .language:       OpenCL C
    .language_version:
      - 2
      - 0
    .max_flat_workgroup_size: 1
    .name:           _Z24warp_reduce_valid_kernelIiLj1ELj61EENSt9enable_ifIXsr10test_utilsE35device_test_enabled_for_warp_size_vIXT1_EEEvE4typeEPT_S4_i
    .private_segment_fixed_size: 0
    .sgpr_count:     14
    .sgpr_spill_count: 0
    .symbol:         _Z24warp_reduce_valid_kernelIiLj1ELj61EENSt9enable_ifIXsr10test_utilsE35device_test_enabled_for_warp_size_vIXT1_EEEvE4typeEPT_S4_i.kd
    .uniform_work_group_size: 1
    .uses_dynamic_stack: false
    .vgpr_count:     4
    .vgpr_spill_count: 0
    .wavefront_size: 64
  - .agpr_count:     0
    .args:
      - .address_space:  global
        .offset:         0
        .size:           8
        .value_kind:     global_buffer
      - .address_space:  global
        .offset:         8
        .size:           8
        .value_kind:     global_buffer
      - .offset:         16
        .size:           4
        .value_kind:     by_value
      - .offset:         24
        .size:           4
        .value_kind:     hidden_block_count_x
      - .offset:         28
        .size:           4
        .value_kind:     hidden_block_count_y
      - .offset:         32
        .size:           4
        .value_kind:     hidden_block_count_z
      - .offset:         36
        .size:           2
        .value_kind:     hidden_group_size_x
      - .offset:         38
        .size:           2
        .value_kind:     hidden_group_size_y
      - .offset:         40
        .size:           2
        .value_kind:     hidden_group_size_z
      - .offset:         42
        .size:           2
        .value_kind:     hidden_remainder_x
      - .offset:         44
        .size:           2
        .value_kind:     hidden_remainder_y
      - .offset:         46
        .size:           2
        .value_kind:     hidden_remainder_z
      - .offset:         64
        .size:           8
        .value_kind:     hidden_global_offset_x
      - .offset:         72
        .size:           8
        .value_kind:     hidden_global_offset_y
      - .offset:         80
        .size:           8
        .value_kind:     hidden_global_offset_z
      - .offset:         88
        .size:           2
        .value_kind:     hidden_grid_dims
    .group_segment_fixed_size: 244
    .kernarg_segment_align: 8
    .kernarg_segment_size: 280
    .language:       OpenCL C
    .language_version:
      - 2
      - 0
    .max_flat_workgroup_size: 61
    .name:           _Z24warp_reduce_valid_kernelIiLj61ELj61EENSt9enable_ifIXsr10test_utilsE35device_test_enabled_for_warp_size_vIXT1_EEEvE4typeEPT_S4_i
    .private_segment_fixed_size: 0
    .sgpr_count:     13
    .sgpr_spill_count: 0
    .symbol:         _Z24warp_reduce_valid_kernelIiLj61ELj61EENSt9enable_ifIXsr10test_utilsE35device_test_enabled_for_warp_size_vIXT1_EEEvE4typeEPT_S4_i.kd
    .uniform_work_group_size: 1
    .uses_dynamic_stack: false
    .vgpr_count:     8
    .vgpr_spill_count: 0
    .wavefront_size: 64
  - .agpr_count:     0
    .args:
      - .address_space:  global
        .offset:         0
        .size:           8
        .value_kind:     global_buffer
      - .address_space:  global
        .offset:         8
        .size:           8
        .value_kind:     global_buffer
      - .offset:         16
        .size:           4
        .value_kind:     by_value
      - .offset:         24
        .size:           4
        .value_kind:     hidden_block_count_x
      - .offset:         28
        .size:           4
        .value_kind:     hidden_block_count_y
      - .offset:         32
        .size:           4
        .value_kind:     hidden_block_count_z
      - .offset:         36
        .size:           2
        .value_kind:     hidden_group_size_x
      - .offset:         38
        .size:           2
        .value_kind:     hidden_group_size_y
      - .offset:         40
        .size:           2
        .value_kind:     hidden_group_size_z
      - .offset:         42
        .size:           2
        .value_kind:     hidden_remainder_x
      - .offset:         44
        .size:           2
        .value_kind:     hidden_remainder_y
      - .offset:         46
        .size:           2
        .value_kind:     hidden_remainder_z
      - .offset:         64
        .size:           8
        .value_kind:     hidden_global_offset_x
      - .offset:         72
        .size:           8
        .value_kind:     hidden_global_offset_y
      - .offset:         80
        .size:           8
        .value_kind:     hidden_global_offset_z
      - .offset:         88
        .size:           2
        .value_kind:     hidden_grid_dims
    .group_segment_fixed_size: 148
    .kernarg_segment_align: 8
    .kernarg_segment_size: 280
    .language:       OpenCL C
    .language_version:
      - 2
      - 0
    .max_flat_workgroup_size: 1
    .name:           _Z24warp_reduce_valid_kernelIiLj1ELj37EENSt9enable_ifIXsr10test_utilsE35device_test_enabled_for_warp_size_vIXT1_EEEvE4typeEPT_S4_i
    .private_segment_fixed_size: 0
    .sgpr_count:     14
    .sgpr_spill_count: 0
    .symbol:         _Z24warp_reduce_valid_kernelIiLj1ELj37EENSt9enable_ifIXsr10test_utilsE35device_test_enabled_for_warp_size_vIXT1_EEEvE4typeEPT_S4_i.kd
    .uniform_work_group_size: 1
    .uses_dynamic_stack: false
    .vgpr_count:     4
    .vgpr_spill_count: 0
    .wavefront_size: 64
  - .agpr_count:     0
    .args:
      - .address_space:  global
        .offset:         0
        .size:           8
        .value_kind:     global_buffer
      - .address_space:  global
        .offset:         8
        .size:           8
        .value_kind:     global_buffer
      - .offset:         16
        .size:           4
        .value_kind:     by_value
      - .offset:         24
        .size:           4
        .value_kind:     hidden_block_count_x
      - .offset:         28
        .size:           4
        .value_kind:     hidden_block_count_y
      - .offset:         32
        .size:           4
        .value_kind:     hidden_block_count_z
      - .offset:         36
        .size:           2
        .value_kind:     hidden_group_size_x
      - .offset:         38
        .size:           2
        .value_kind:     hidden_group_size_y
      - .offset:         40
        .size:           2
        .value_kind:     hidden_group_size_z
      - .offset:         42
        .size:           2
        .value_kind:     hidden_remainder_x
      - .offset:         44
        .size:           2
        .value_kind:     hidden_remainder_y
      - .offset:         46
        .size:           2
        .value_kind:     hidden_remainder_z
      - .offset:         64
        .size:           8
        .value_kind:     hidden_global_offset_x
      - .offset:         72
        .size:           8
        .value_kind:     hidden_global_offset_y
      - .offset:         80
        .size:           8
        .value_kind:     hidden_global_offset_z
      - .offset:         88
        .size:           2
        .value_kind:     hidden_grid_dims
    .group_segment_fixed_size: 148
    .kernarg_segment_align: 8
    .kernarg_segment_size: 280
    .language:       OpenCL C
    .language_version:
      - 2
      - 0
    .max_flat_workgroup_size: 37
    .name:           _Z24warp_reduce_valid_kernelIiLj37ELj37EENSt9enable_ifIXsr10test_utilsE35device_test_enabled_for_warp_size_vIXT1_EEEvE4typeEPT_S4_i
    .private_segment_fixed_size: 0
    .sgpr_count:     13
    .sgpr_spill_count: 0
    .symbol:         _Z24warp_reduce_valid_kernelIiLj37ELj37EENSt9enable_ifIXsr10test_utilsE35device_test_enabled_for_warp_size_vIXT1_EEEvE4typeEPT_S4_i.kd
    .uniform_work_group_size: 1
    .uses_dynamic_stack: false
    .vgpr_count:     8
    .vgpr_spill_count: 0
    .wavefront_size: 64
  - .agpr_count:     0
    .args:
      - .address_space:  global
        .offset:         0
        .size:           8
        .value_kind:     global_buffer
      - .address_space:  global
        .offset:         8
        .size:           8
        .value_kind:     global_buffer
      - .offset:         16
        .size:           4
        .value_kind:     by_value
      - .offset:         24
        .size:           4
        .value_kind:     hidden_block_count_x
      - .offset:         28
        .size:           4
        .value_kind:     hidden_block_count_y
      - .offset:         32
        .size:           4
        .value_kind:     hidden_block_count_z
      - .offset:         36
        .size:           2
        .value_kind:     hidden_group_size_x
      - .offset:         38
        .size:           2
        .value_kind:     hidden_group_size_y
      - .offset:         40
        .size:           2
        .value_kind:     hidden_group_size_z
      - .offset:         42
        .size:           2
        .value_kind:     hidden_remainder_x
      - .offset:         44
        .size:           2
        .value_kind:     hidden_remainder_y
      - .offset:         46
        .size:           2
        .value_kind:     hidden_remainder_z
      - .offset:         64
        .size:           8
        .value_kind:     hidden_global_offset_x
      - .offset:         72
        .size:           8
        .value_kind:     hidden_global_offset_y
      - .offset:         80
        .size:           8
        .value_kind:     hidden_global_offset_z
      - .offset:         88
        .size:           2
        .value_kind:     hidden_grid_dims
    .group_segment_fixed_size: 120
    .kernarg_segment_align: 8
    .kernarg_segment_size: 280
    .language:       OpenCL C
    .language_version:
      - 2
      - 0
    .max_flat_workgroup_size: 30
    .name:           _Z24warp_reduce_valid_kernelIiLj30ELj15EENSt9enable_ifIXsr10test_utilsE35device_test_enabled_for_warp_size_vIXT1_EEEvE4typeEPT_S4_i
    .private_segment_fixed_size: 0
    .sgpr_count:     13
    .sgpr_spill_count: 0
    .symbol:         _Z24warp_reduce_valid_kernelIiLj30ELj15EENSt9enable_ifIXsr10test_utilsE35device_test_enabled_for_warp_size_vIXT1_EEEvE4typeEPT_S4_i.kd
    .uniform_work_group_size: 1
    .uses_dynamic_stack: false
    .vgpr_count:     8
    .vgpr_spill_count: 0
    .wavefront_size: 64
  - .agpr_count:     0
    .args:
      - .address_space:  global
        .offset:         0
        .size:           8
        .value_kind:     global_buffer
      - .address_space:  global
        .offset:         8
        .size:           8
        .value_kind:     global_buffer
      - .offset:         16
        .size:           4
        .value_kind:     by_value
      - .offset:         24
        .size:           4
        .value_kind:     hidden_block_count_x
      - .offset:         28
        .size:           4
        .value_kind:     hidden_block_count_y
      - .offset:         32
        .size:           4
        .value_kind:     hidden_block_count_z
      - .offset:         36
        .size:           2
        .value_kind:     hidden_group_size_x
      - .offset:         38
        .size:           2
        .value_kind:     hidden_group_size_y
      - .offset:         40
        .size:           2
        .value_kind:     hidden_group_size_z
      - .offset:         42
        .size:           2
        .value_kind:     hidden_remainder_x
      - .offset:         44
        .size:           2
        .value_kind:     hidden_remainder_y
      - .offset:         46
        .size:           2
        .value_kind:     hidden_remainder_z
      - .offset:         64
        .size:           8
        .value_kind:     hidden_global_offset_x
      - .offset:         72
        .size:           8
        .value_kind:     hidden_global_offset_y
      - .offset:         80
        .size:           8
        .value_kind:     hidden_global_offset_z
      - .offset:         88
        .size:           2
        .value_kind:     hidden_grid_dims
    .group_segment_fixed_size: 240
    .kernarg_segment_align: 8
    .kernarg_segment_size: 280
    .language:       OpenCL C
    .language_version:
      - 2
      - 0
    .max_flat_workgroup_size: 60
    .name:           _Z24warp_reduce_valid_kernelIiLj60ELj15EENSt9enable_ifIXsr10test_utilsE35device_test_enabled_for_warp_size_vIXT1_EEEvE4typeEPT_S4_i
    .private_segment_fixed_size: 0
    .sgpr_count:     13
    .sgpr_spill_count: 0
    .symbol:         _Z24warp_reduce_valid_kernelIiLj60ELj15EENSt9enable_ifIXsr10test_utilsE35device_test_enabled_for_warp_size_vIXT1_EEEvE4typeEPT_S4_i.kd
    .uniform_work_group_size: 1
    .uses_dynamic_stack: false
    .vgpr_count:     8
    .vgpr_spill_count: 0
    .wavefront_size: 64
  - .agpr_count:     0
    .args:
      - .address_space:  global
        .offset:         0
        .size:           8
        .value_kind:     global_buffer
      - .address_space:  global
        .offset:         8
        .size:           8
        .value_kind:     global_buffer
      - .offset:         16
        .size:           4
        .value_kind:     by_value
      - .offset:         24
        .size:           4
        .value_kind:     hidden_block_count_x
      - .offset:         28
        .size:           4
        .value_kind:     hidden_block_count_y
      - .offset:         32
        .size:           4
        .value_kind:     hidden_block_count_z
      - .offset:         36
        .size:           2
        .value_kind:     hidden_group_size_x
      - .offset:         38
        .size:           2
        .value_kind:     hidden_group_size_y
      - .offset:         40
        .size:           2
        .value_kind:     hidden_group_size_z
      - .offset:         42
        .size:           2
        .value_kind:     hidden_remainder_x
      - .offset:         44
        .size:           2
        .value_kind:     hidden_remainder_y
      - .offset:         46
        .size:           2
        .value_kind:     hidden_remainder_z
      - .offset:         64
        .size:           8
        .value_kind:     hidden_global_offset_x
      - .offset:         72
        .size:           8
        .value_kind:     hidden_global_offset_y
      - .offset:         80
        .size:           8
        .value_kind:     hidden_global_offset_z
      - .offset:         88
        .size:           2
        .value_kind:     hidden_grid_dims
    .group_segment_fixed_size: 112
    .kernarg_segment_align: 8
    .kernarg_segment_size: 280
    .language:       OpenCL C
    .language_version:
      - 2
      - 0
    .max_flat_workgroup_size: 28
    .name:           _Z24warp_reduce_valid_kernelIiLj28ELj7EENSt9enable_ifIXsr10test_utilsE35device_test_enabled_for_warp_size_vIXT1_EEEvE4typeEPT_S4_i
    .private_segment_fixed_size: 0
    .sgpr_count:     13
    .sgpr_spill_count: 0
    .symbol:         _Z24warp_reduce_valid_kernelIiLj28ELj7EENSt9enable_ifIXsr10test_utilsE35device_test_enabled_for_warp_size_vIXT1_EEEvE4typeEPT_S4_i.kd
    .uniform_work_group_size: 1
    .uses_dynamic_stack: false
    .vgpr_count:     8
    .vgpr_spill_count: 0
    .wavefront_size: 64
  - .agpr_count:     0
    .args:
      - .address_space:  global
        .offset:         0
        .size:           8
        .value_kind:     global_buffer
      - .address_space:  global
        .offset:         8
        .size:           8
        .value_kind:     global_buffer
      - .offset:         16
        .size:           4
        .value_kind:     by_value
      - .offset:         24
        .size:           4
        .value_kind:     hidden_block_count_x
      - .offset:         28
        .size:           4
        .value_kind:     hidden_block_count_y
      - .offset:         32
        .size:           4
        .value_kind:     hidden_block_count_z
      - .offset:         36
        .size:           2
        .value_kind:     hidden_group_size_x
      - .offset:         38
        .size:           2
        .value_kind:     hidden_group_size_y
      - .offset:         40
        .size:           2
        .value_kind:     hidden_group_size_z
      - .offset:         42
        .size:           2
        .value_kind:     hidden_remainder_x
      - .offset:         44
        .size:           2
        .value_kind:     hidden_remainder_y
      - .offset:         46
        .size:           2
        .value_kind:     hidden_remainder_z
      - .offset:         64
        .size:           8
        .value_kind:     hidden_global_offset_x
      - .offset:         72
        .size:           8
        .value_kind:     hidden_global_offset_y
      - .offset:         80
        .size:           8
        .value_kind:     hidden_global_offset_z
      - .offset:         88
        .size:           2
        .value_kind:     hidden_grid_dims
    .group_segment_fixed_size: 252
    .kernarg_segment_align: 8
    .kernarg_segment_size: 280
    .language:       OpenCL C
    .language_version:
      - 2
      - 0
    .max_flat_workgroup_size: 63
    .name:           _Z24warp_reduce_valid_kernelIiLj63ELj7EENSt9enable_ifIXsr10test_utilsE35device_test_enabled_for_warp_size_vIXT1_EEEvE4typeEPT_S4_i
    .private_segment_fixed_size: 0
    .sgpr_count:     13
    .sgpr_spill_count: 0
    .symbol:         _Z24warp_reduce_valid_kernelIiLj63ELj7EENSt9enable_ifIXsr10test_utilsE35device_test_enabled_for_warp_size_vIXT1_EEEvE4typeEPT_S4_i.kd
    .uniform_work_group_size: 1
    .uses_dynamic_stack: false
    .vgpr_count:     8
    .vgpr_spill_count: 0
    .wavefront_size: 64
  - .agpr_count:     0
    .args:
      - .address_space:  global
        .offset:         0
        .size:           8
        .value_kind:     global_buffer
      - .address_space:  global
        .offset:         8
        .size:           8
        .value_kind:     global_buffer
      - .offset:         16
        .size:           4
        .value_kind:     by_value
      - .offset:         24
        .size:           4
        .value_kind:     hidden_block_count_x
      - .offset:         28
        .size:           4
        .value_kind:     hidden_block_count_y
      - .offset:         32
        .size:           4
        .value_kind:     hidden_block_count_z
      - .offset:         36
        .size:           2
        .value_kind:     hidden_group_size_x
      - .offset:         38
        .size:           2
        .value_kind:     hidden_group_size_y
      - .offset:         40
        .size:           2
        .value_kind:     hidden_group_size_z
      - .offset:         42
        .size:           2
        .value_kind:     hidden_remainder_x
      - .offset:         44
        .size:           2
        .value_kind:     hidden_remainder_y
      - .offset:         46
        .size:           2
        .value_kind:     hidden_remainder_z
      - .offset:         64
        .size:           8
        .value_kind:     hidden_global_offset_x
      - .offset:         72
        .size:           8
        .value_kind:     hidden_global_offset_y
      - .offset:         80
        .size:           8
        .value_kind:     hidden_global_offset_z
      - .offset:         88
        .size:           2
        .value_kind:     hidden_grid_dims
    .group_segment_fixed_size: 120
    .kernarg_segment_align: 8
    .kernarg_segment_size: 280
    .language:       OpenCL C
    .language_version:
      - 2
      - 0
    .max_flat_workgroup_size: 30
    .name:           _Z24warp_reduce_valid_kernelIiLj30ELj3EENSt9enable_ifIXsr10test_utilsE35device_test_enabled_for_warp_size_vIXT1_EEEvE4typeEPT_S4_i
    .private_segment_fixed_size: 0
    .sgpr_count:     13
    .sgpr_spill_count: 0
    .symbol:         _Z24warp_reduce_valid_kernelIiLj30ELj3EENSt9enable_ifIXsr10test_utilsE35device_test_enabled_for_warp_size_vIXT1_EEEvE4typeEPT_S4_i.kd
    .uniform_work_group_size: 1
    .uses_dynamic_stack: false
    .vgpr_count:     8
    .vgpr_spill_count: 0
    .wavefront_size: 64
  - .agpr_count:     0
    .args:
      - .address_space:  global
        .offset:         0
        .size:           8
        .value_kind:     global_buffer
      - .address_space:  global
        .offset:         8
        .size:           8
        .value_kind:     global_buffer
      - .offset:         16
        .size:           4
        .value_kind:     by_value
      - .offset:         24
        .size:           4
        .value_kind:     hidden_block_count_x
      - .offset:         28
        .size:           4
        .value_kind:     hidden_block_count_y
      - .offset:         32
        .size:           4
        .value_kind:     hidden_block_count_z
      - .offset:         36
        .size:           2
        .value_kind:     hidden_group_size_x
      - .offset:         38
        .size:           2
        .value_kind:     hidden_group_size_y
      - .offset:         40
        .size:           2
        .value_kind:     hidden_group_size_z
      - .offset:         42
        .size:           2
        .value_kind:     hidden_remainder_x
      - .offset:         44
        .size:           2
        .value_kind:     hidden_remainder_y
      - .offset:         46
        .size:           2
        .value_kind:     hidden_remainder_z
      - .offset:         64
        .size:           8
        .value_kind:     hidden_global_offset_x
      - .offset:         72
        .size:           8
        .value_kind:     hidden_global_offset_y
      - .offset:         80
        .size:           8
        .value_kind:     hidden_global_offset_z
      - .offset:         88
        .size:           2
        .value_kind:     hidden_grid_dims
    .group_segment_fixed_size: 252
    .kernarg_segment_align: 8
    .kernarg_segment_size: 280
    .language:       OpenCL C
    .language_version:
      - 2
      - 0
    .max_flat_workgroup_size: 63
    .name:           _Z24warp_reduce_valid_kernelIiLj63ELj3EENSt9enable_ifIXsr10test_utilsE35device_test_enabled_for_warp_size_vIXT1_EEEvE4typeEPT_S4_i
    .private_segment_fixed_size: 0
    .sgpr_count:     13
    .sgpr_spill_count: 0
    .symbol:         _Z24warp_reduce_valid_kernelIiLj63ELj3EENSt9enable_ifIXsr10test_utilsE35device_test_enabled_for_warp_size_vIXT1_EEEvE4typeEPT_S4_i.kd
    .uniform_work_group_size: 1
    .uses_dynamic_stack: false
    .vgpr_count:     8
    .vgpr_spill_count: 0
    .wavefront_size: 64
  - .agpr_count:     0
    .args:
      - .address_space:  global
        .offset:         0
        .size:           8
        .value_kind:     global_buffer
      - .address_space:  global
        .offset:         8
        .size:           8
        .value_kind:     global_buffer
      - .offset:         16
        .size:           4
        .value_kind:     by_value
      - .offset:         24
        .size:           4
        .value_kind:     hidden_block_count_x
      - .offset:         28
        .size:           4
        .value_kind:     hidden_block_count_y
      - .offset:         32
        .size:           4
        .value_kind:     hidden_block_count_z
      - .offset:         36
        .size:           2
        .value_kind:     hidden_group_size_x
      - .offset:         38
        .size:           2
        .value_kind:     hidden_group_size_y
      - .offset:         40
        .size:           2
        .value_kind:     hidden_group_size_z
      - .offset:         42
        .size:           2
        .value_kind:     hidden_remainder_x
      - .offset:         44
        .size:           2
        .value_kind:     hidden_remainder_y
      - .offset:         46
        .size:           2
        .value_kind:     hidden_remainder_z
      - .offset:         64
        .size:           8
        .value_kind:     hidden_global_offset_x
      - .offset:         72
        .size:           8
        .value_kind:     hidden_global_offset_y
      - .offset:         80
        .size:           8
        .value_kind:     hidden_global_offset_z
      - .offset:         88
        .size:           2
        .value_kind:     hidden_grid_dims
    .group_segment_fixed_size: 0
    .kernarg_segment_align: 8
    .kernarg_segment_size: 280
    .language:       OpenCL C
    .language_version:
      - 2
      - 0
    .max_flat_workgroup_size: 256
    .name:           _Z24warp_reduce_valid_kernelI12hip_bfloat16Lj256ELj64EENSt9enable_ifIXsr10test_utilsE35device_test_enabled_for_warp_size_vIXT1_EEEvE4typeEPT_S5_i
    .private_segment_fixed_size: 0
    .sgpr_count:     13
    .sgpr_spill_count: 0
    .symbol:         _Z24warp_reduce_valid_kernelI12hip_bfloat16Lj256ELj64EENSt9enable_ifIXsr10test_utilsE35device_test_enabled_for_warp_size_vIXT1_EEEvE4typeEPT_S5_i.kd
    .uniform_work_group_size: 1
    .uses_dynamic_stack: false
    .vgpr_count:     8
    .vgpr_spill_count: 0
    .wavefront_size: 64
  - .agpr_count:     0
    .args:
      - .address_space:  global
        .offset:         0
        .size:           8
        .value_kind:     global_buffer
      - .address_space:  global
        .offset:         8
        .size:           8
        .value_kind:     global_buffer
      - .offset:         16
        .size:           4
        .value_kind:     by_value
      - .offset:         24
        .size:           4
        .value_kind:     hidden_block_count_x
      - .offset:         28
        .size:           4
        .value_kind:     hidden_block_count_y
      - .offset:         32
        .size:           4
        .value_kind:     hidden_block_count_z
      - .offset:         36
        .size:           2
        .value_kind:     hidden_group_size_x
      - .offset:         38
        .size:           2
        .value_kind:     hidden_group_size_y
      - .offset:         40
        .size:           2
        .value_kind:     hidden_group_size_z
      - .offset:         42
        .size:           2
        .value_kind:     hidden_remainder_x
      - .offset:         44
        .size:           2
        .value_kind:     hidden_remainder_y
      - .offset:         46
        .size:           2
        .value_kind:     hidden_remainder_z
      - .offset:         64
        .size:           8
        .value_kind:     hidden_global_offset_x
      - .offset:         72
        .size:           8
        .value_kind:     hidden_global_offset_y
      - .offset:         80
        .size:           8
        .value_kind:     hidden_global_offset_z
      - .offset:         88
        .size:           2
        .value_kind:     hidden_grid_dims
    .group_segment_fixed_size: 0
    .kernarg_segment_align: 8
    .kernarg_segment_size: 280
    .language:       OpenCL C
    .language_version:
      - 2
      - 0
    .max_flat_workgroup_size: 128
    .name:           _Z24warp_reduce_valid_kernelI12hip_bfloat16Lj128ELj32EENSt9enable_ifIXsr10test_utilsE35device_test_enabled_for_warp_size_vIXT1_EEEvE4typeEPT_S5_i
    .private_segment_fixed_size: 0
    .sgpr_count:     13
    .sgpr_spill_count: 0
    .symbol:         _Z24warp_reduce_valid_kernelI12hip_bfloat16Lj128ELj32EENSt9enable_ifIXsr10test_utilsE35device_test_enabled_for_warp_size_vIXT1_EEEvE4typeEPT_S5_i.kd
    .uniform_work_group_size: 1
    .uses_dynamic_stack: false
    .vgpr_count:     8
    .vgpr_spill_count: 0
    .wavefront_size: 64
  - .agpr_count:     0
    .args:
      - .address_space:  global
        .offset:         0
        .size:           8
        .value_kind:     global_buffer
      - .address_space:  global
        .offset:         8
        .size:           8
        .value_kind:     global_buffer
      - .offset:         16
        .size:           4
        .value_kind:     by_value
      - .offset:         24
        .size:           4
        .value_kind:     hidden_block_count_x
      - .offset:         28
        .size:           4
        .value_kind:     hidden_block_count_y
      - .offset:         32
        .size:           4
        .value_kind:     hidden_block_count_z
      - .offset:         36
        .size:           2
        .value_kind:     hidden_group_size_x
      - .offset:         38
        .size:           2
        .value_kind:     hidden_group_size_y
      - .offset:         40
        .size:           2
        .value_kind:     hidden_group_size_z
      - .offset:         42
        .size:           2
        .value_kind:     hidden_remainder_x
      - .offset:         44
        .size:           2
        .value_kind:     hidden_remainder_y
      - .offset:         46
        .size:           2
        .value_kind:     hidden_remainder_z
      - .offset:         64
        .size:           8
        .value_kind:     hidden_global_offset_x
      - .offset:         72
        .size:           8
        .value_kind:     hidden_global_offset_y
      - .offset:         80
        .size:           8
        .value_kind:     hidden_global_offset_z
      - .offset:         88
        .size:           2
        .value_kind:     hidden_grid_dims
    .group_segment_fixed_size: 0
    .kernarg_segment_align: 8
    .kernarg_segment_size: 280
    .language:       OpenCL C
    .language_version:
      - 2
      - 0
    .max_flat_workgroup_size: 64
    .name:           _Z24warp_reduce_valid_kernelI12hip_bfloat16Lj64ELj16EENSt9enable_ifIXsr10test_utilsE35device_test_enabled_for_warp_size_vIXT1_EEEvE4typeEPT_S5_i
    .private_segment_fixed_size: 0
    .sgpr_count:     13
    .sgpr_spill_count: 0
    .symbol:         _Z24warp_reduce_valid_kernelI12hip_bfloat16Lj64ELj16EENSt9enable_ifIXsr10test_utilsE35device_test_enabled_for_warp_size_vIXT1_EEEvE4typeEPT_S5_i.kd
    .uniform_work_group_size: 1
    .uses_dynamic_stack: false
    .vgpr_count:     8
    .vgpr_spill_count: 0
    .wavefront_size: 64
  - .agpr_count:     0
    .args:
      - .address_space:  global
        .offset:         0
        .size:           8
        .value_kind:     global_buffer
      - .address_space:  global
        .offset:         8
        .size:           8
        .value_kind:     global_buffer
      - .offset:         16
        .size:           4
        .value_kind:     by_value
      - .offset:         24
        .size:           4
        .value_kind:     hidden_block_count_x
      - .offset:         28
        .size:           4
        .value_kind:     hidden_block_count_y
      - .offset:         32
        .size:           4
        .value_kind:     hidden_block_count_z
      - .offset:         36
        .size:           2
        .value_kind:     hidden_group_size_x
      - .offset:         38
        .size:           2
        .value_kind:     hidden_group_size_y
      - .offset:         40
        .size:           2
        .value_kind:     hidden_group_size_z
      - .offset:         42
        .size:           2
        .value_kind:     hidden_remainder_x
      - .offset:         44
        .size:           2
        .value_kind:     hidden_remainder_y
      - .offset:         46
        .size:           2
        .value_kind:     hidden_remainder_z
      - .offset:         64
        .size:           8
        .value_kind:     hidden_global_offset_x
      - .offset:         72
        .size:           8
        .value_kind:     hidden_global_offset_y
      - .offset:         80
        .size:           8
        .value_kind:     hidden_global_offset_z
      - .offset:         88
        .size:           2
        .value_kind:     hidden_grid_dims
    .group_segment_fixed_size: 0
    .kernarg_segment_align: 8
    .kernarg_segment_size: 280
    .language:       OpenCL C
    .language_version:
      - 2
      - 0
    .max_flat_workgroup_size: 32
    .name:           _Z24warp_reduce_valid_kernelI12hip_bfloat16Lj32ELj8EENSt9enable_ifIXsr10test_utilsE35device_test_enabled_for_warp_size_vIXT1_EEEvE4typeEPT_S5_i
    .private_segment_fixed_size: 0
    .sgpr_count:     13
    .sgpr_spill_count: 0
    .symbol:         _Z24warp_reduce_valid_kernelI12hip_bfloat16Lj32ELj8EENSt9enable_ifIXsr10test_utilsE35device_test_enabled_for_warp_size_vIXT1_EEEvE4typeEPT_S5_i.kd
    .uniform_work_group_size: 1
    .uses_dynamic_stack: false
    .vgpr_count:     8
    .vgpr_spill_count: 0
    .wavefront_size: 64
  - .agpr_count:     0
    .args:
      - .address_space:  global
        .offset:         0
        .size:           8
        .value_kind:     global_buffer
      - .address_space:  global
        .offset:         8
        .size:           8
        .value_kind:     global_buffer
      - .offset:         16
        .size:           4
        .value_kind:     by_value
      - .offset:         24
        .size:           4
        .value_kind:     hidden_block_count_x
      - .offset:         28
        .size:           4
        .value_kind:     hidden_block_count_y
      - .offset:         32
        .size:           4
        .value_kind:     hidden_block_count_z
      - .offset:         36
        .size:           2
        .value_kind:     hidden_group_size_x
      - .offset:         38
        .size:           2
        .value_kind:     hidden_group_size_y
      - .offset:         40
        .size:           2
        .value_kind:     hidden_group_size_z
      - .offset:         42
        .size:           2
        .value_kind:     hidden_remainder_x
      - .offset:         44
        .size:           2
        .value_kind:     hidden_remainder_y
      - .offset:         46
        .size:           2
        .value_kind:     hidden_remainder_z
      - .offset:         64
        .size:           8
        .value_kind:     hidden_global_offset_x
      - .offset:         72
        .size:           8
        .value_kind:     hidden_global_offset_y
      - .offset:         80
        .size:           8
        .value_kind:     hidden_global_offset_z
      - .offset:         88
        .size:           2
        .value_kind:     hidden_grid_dims
    .group_segment_fixed_size: 0
    .kernarg_segment_align: 8
    .kernarg_segment_size: 280
    .language:       OpenCL C
    .language_version:
      - 2
      - 0
    .max_flat_workgroup_size: 64
    .name:           _Z24warp_reduce_valid_kernelI12hip_bfloat16Lj64ELj8EENSt9enable_ifIXsr10test_utilsE35device_test_enabled_for_warp_size_vIXT1_EEEvE4typeEPT_S5_i
    .private_segment_fixed_size: 0
    .sgpr_count:     13
    .sgpr_spill_count: 0
    .symbol:         _Z24warp_reduce_valid_kernelI12hip_bfloat16Lj64ELj8EENSt9enable_ifIXsr10test_utilsE35device_test_enabled_for_warp_size_vIXT1_EEEvE4typeEPT_S5_i.kd
    .uniform_work_group_size: 1
    .uses_dynamic_stack: false
    .vgpr_count:     8
    .vgpr_spill_count: 0
    .wavefront_size: 64
  - .agpr_count:     0
    .args:
      - .address_space:  global
        .offset:         0
        .size:           8
        .value_kind:     global_buffer
      - .address_space:  global
        .offset:         8
        .size:           8
        .value_kind:     global_buffer
      - .offset:         16
        .size:           4
        .value_kind:     by_value
      - .offset:         24
        .size:           4
        .value_kind:     hidden_block_count_x
      - .offset:         28
        .size:           4
        .value_kind:     hidden_block_count_y
      - .offset:         32
        .size:           4
        .value_kind:     hidden_block_count_z
      - .offset:         36
        .size:           2
        .value_kind:     hidden_group_size_x
      - .offset:         38
        .size:           2
        .value_kind:     hidden_group_size_y
      - .offset:         40
        .size:           2
        .value_kind:     hidden_group_size_z
      - .offset:         42
        .size:           2
        .value_kind:     hidden_remainder_x
      - .offset:         44
        .size:           2
        .value_kind:     hidden_remainder_y
      - .offset:         46
        .size:           2
        .value_kind:     hidden_remainder_z
      - .offset:         64
        .size:           8
        .value_kind:     hidden_global_offset_x
      - .offset:         72
        .size:           8
        .value_kind:     hidden_global_offset_y
      - .offset:         80
        .size:           8
        .value_kind:     hidden_global_offset_z
      - .offset:         88
        .size:           2
        .value_kind:     hidden_grid_dims
    .group_segment_fixed_size: 0
    .kernarg_segment_align: 8
    .kernarg_segment_size: 280
    .language:       OpenCL C
    .language_version:
      - 2
      - 0
    .max_flat_workgroup_size: 32
    .name:           _Z24warp_reduce_valid_kernelI12hip_bfloat16Lj32ELj4EENSt9enable_ifIXsr10test_utilsE35device_test_enabled_for_warp_size_vIXT1_EEEvE4typeEPT_S5_i
    .private_segment_fixed_size: 0
    .sgpr_count:     13
    .sgpr_spill_count: 0
    .symbol:         _Z24warp_reduce_valid_kernelI12hip_bfloat16Lj32ELj4EENSt9enable_ifIXsr10test_utilsE35device_test_enabled_for_warp_size_vIXT1_EEEvE4typeEPT_S5_i.kd
    .uniform_work_group_size: 1
    .uses_dynamic_stack: false
    .vgpr_count:     8
    .vgpr_spill_count: 0
    .wavefront_size: 64
  - .agpr_count:     0
    .args:
      - .address_space:  global
        .offset:         0
        .size:           8
        .value_kind:     global_buffer
      - .address_space:  global
        .offset:         8
        .size:           8
        .value_kind:     global_buffer
      - .offset:         16
        .size:           4
        .value_kind:     by_value
      - .offset:         24
        .size:           4
        .value_kind:     hidden_block_count_x
      - .offset:         28
        .size:           4
        .value_kind:     hidden_block_count_y
      - .offset:         32
        .size:           4
        .value_kind:     hidden_block_count_z
      - .offset:         36
        .size:           2
        .value_kind:     hidden_group_size_x
      - .offset:         38
        .size:           2
        .value_kind:     hidden_group_size_y
      - .offset:         40
        .size:           2
        .value_kind:     hidden_group_size_z
      - .offset:         42
        .size:           2
        .value_kind:     hidden_remainder_x
      - .offset:         44
        .size:           2
        .value_kind:     hidden_remainder_y
      - .offset:         46
        .size:           2
        .value_kind:     hidden_remainder_z
      - .offset:         64
        .size:           8
        .value_kind:     hidden_global_offset_x
      - .offset:         72
        .size:           8
        .value_kind:     hidden_global_offset_y
      - .offset:         80
        .size:           8
        .value_kind:     hidden_global_offset_z
      - .offset:         88
        .size:           2
        .value_kind:     hidden_grid_dims
    .group_segment_fixed_size: 0
    .kernarg_segment_align: 8
    .kernarg_segment_size: 280
    .language:       OpenCL C
    .language_version:
      - 2
      - 0
    .max_flat_workgroup_size: 64
    .name:           _Z24warp_reduce_valid_kernelI12hip_bfloat16Lj64ELj4EENSt9enable_ifIXsr10test_utilsE35device_test_enabled_for_warp_size_vIXT1_EEEvE4typeEPT_S5_i
    .private_segment_fixed_size: 0
    .sgpr_count:     13
    .sgpr_spill_count: 0
    .symbol:         _Z24warp_reduce_valid_kernelI12hip_bfloat16Lj64ELj4EENSt9enable_ifIXsr10test_utilsE35device_test_enabled_for_warp_size_vIXT1_EEEvE4typeEPT_S5_i.kd
    .uniform_work_group_size: 1
    .uses_dynamic_stack: false
    .vgpr_count:     8
    .vgpr_spill_count: 0
    .wavefront_size: 64
  - .agpr_count:     0
    .args:
      - .address_space:  global
        .offset:         0
        .size:           8
        .value_kind:     global_buffer
      - .address_space:  global
        .offset:         8
        .size:           8
        .value_kind:     global_buffer
      - .offset:         16
        .size:           4
        .value_kind:     by_value
      - .offset:         24
        .size:           4
        .value_kind:     hidden_block_count_x
      - .offset:         28
        .size:           4
        .value_kind:     hidden_block_count_y
      - .offset:         32
        .size:           4
        .value_kind:     hidden_block_count_z
      - .offset:         36
        .size:           2
        .value_kind:     hidden_group_size_x
      - .offset:         38
        .size:           2
        .value_kind:     hidden_group_size_y
      - .offset:         40
        .size:           2
        .value_kind:     hidden_group_size_z
      - .offset:         42
        .size:           2
        .value_kind:     hidden_remainder_x
      - .offset:         44
        .size:           2
        .value_kind:     hidden_remainder_y
      - .offset:         46
        .size:           2
        .value_kind:     hidden_remainder_z
      - .offset:         64
        .size:           8
        .value_kind:     hidden_global_offset_x
      - .offset:         72
        .size:           8
        .value_kind:     hidden_global_offset_y
      - .offset:         80
        .size:           8
        .value_kind:     hidden_global_offset_z
      - .offset:         88
        .size:           2
        .value_kind:     hidden_grid_dims
    .group_segment_fixed_size: 0
    .kernarg_segment_align: 8
    .kernarg_segment_size: 280
    .language:       OpenCL C
    .language_version:
      - 2
      - 0
    .max_flat_workgroup_size: 32
    .name:           _Z24warp_reduce_valid_kernelI12hip_bfloat16Lj32ELj2EENSt9enable_ifIXsr10test_utilsE35device_test_enabled_for_warp_size_vIXT1_EEEvE4typeEPT_S5_i
    .private_segment_fixed_size: 0
    .sgpr_count:     13
    .sgpr_spill_count: 0
    .symbol:         _Z24warp_reduce_valid_kernelI12hip_bfloat16Lj32ELj2EENSt9enable_ifIXsr10test_utilsE35device_test_enabled_for_warp_size_vIXT1_EEEvE4typeEPT_S5_i.kd
    .uniform_work_group_size: 1
    .uses_dynamic_stack: false
    .vgpr_count:     8
    .vgpr_spill_count: 0
    .wavefront_size: 64
  - .agpr_count:     0
    .args:
      - .address_space:  global
        .offset:         0
        .size:           8
        .value_kind:     global_buffer
      - .address_space:  global
        .offset:         8
        .size:           8
        .value_kind:     global_buffer
      - .offset:         16
        .size:           4
        .value_kind:     by_value
      - .offset:         24
        .size:           4
        .value_kind:     hidden_block_count_x
      - .offset:         28
        .size:           4
        .value_kind:     hidden_block_count_y
      - .offset:         32
        .size:           4
        .value_kind:     hidden_block_count_z
      - .offset:         36
        .size:           2
        .value_kind:     hidden_group_size_x
      - .offset:         38
        .size:           2
        .value_kind:     hidden_group_size_y
      - .offset:         40
        .size:           2
        .value_kind:     hidden_group_size_z
      - .offset:         42
        .size:           2
        .value_kind:     hidden_remainder_x
      - .offset:         44
        .size:           2
        .value_kind:     hidden_remainder_y
      - .offset:         46
        .size:           2
        .value_kind:     hidden_remainder_z
      - .offset:         64
        .size:           8
        .value_kind:     hidden_global_offset_x
      - .offset:         72
        .size:           8
        .value_kind:     hidden_global_offset_y
      - .offset:         80
        .size:           8
        .value_kind:     hidden_global_offset_z
      - .offset:         88
        .size:           2
        .value_kind:     hidden_grid_dims
    .group_segment_fixed_size: 0
    .kernarg_segment_align: 8
    .kernarg_segment_size: 280
    .language:       OpenCL C
    .language_version:
      - 2
      - 0
    .max_flat_workgroup_size: 64
    .name:           _Z24warp_reduce_valid_kernelI12hip_bfloat16Lj64ELj2EENSt9enable_ifIXsr10test_utilsE35device_test_enabled_for_warp_size_vIXT1_EEEvE4typeEPT_S5_i
    .private_segment_fixed_size: 0
    .sgpr_count:     13
    .sgpr_spill_count: 0
    .symbol:         _Z24warp_reduce_valid_kernelI12hip_bfloat16Lj64ELj2EENSt9enable_ifIXsr10test_utilsE35device_test_enabled_for_warp_size_vIXT1_EEEvE4typeEPT_S5_i.kd
    .uniform_work_group_size: 1
    .uses_dynamic_stack: false
    .vgpr_count:     8
    .vgpr_spill_count: 0
    .wavefront_size: 64
  - .agpr_count:     0
    .args:
      - .address_space:  global
        .offset:         0
        .size:           8
        .value_kind:     global_buffer
      - .address_space:  global
        .offset:         8
        .size:           8
        .value_kind:     global_buffer
      - .offset:         16
        .size:           4
        .value_kind:     by_value
      - .offset:         24
        .size:           4
        .value_kind:     hidden_block_count_x
      - .offset:         28
        .size:           4
        .value_kind:     hidden_block_count_y
      - .offset:         32
        .size:           4
        .value_kind:     hidden_block_count_z
      - .offset:         36
        .size:           2
        .value_kind:     hidden_group_size_x
      - .offset:         38
        .size:           2
        .value_kind:     hidden_group_size_y
      - .offset:         40
        .size:           2
        .value_kind:     hidden_group_size_z
      - .offset:         42
        .size:           2
        .value_kind:     hidden_remainder_x
      - .offset:         44
        .size:           2
        .value_kind:     hidden_remainder_y
      - .offset:         46
        .size:           2
        .value_kind:     hidden_remainder_z
      - .offset:         64
        .size:           8
        .value_kind:     hidden_global_offset_x
      - .offset:         72
        .size:           8
        .value_kind:     hidden_global_offset_y
      - .offset:         80
        .size:           8
        .value_kind:     hidden_global_offset_z
      - .offset:         88
        .size:           2
        .value_kind:     hidden_grid_dims
    .group_segment_fixed_size: 0
    .kernarg_segment_align: 8
    .kernarg_segment_size: 280
    .language:       OpenCL C
    .language_version:
      - 2
      - 0
    .max_flat_workgroup_size: 32
    .name:           _Z24warp_reduce_valid_kernelI12hip_bfloat16Lj32ELj1EENSt9enable_ifIXsr10test_utilsE35device_test_enabled_for_warp_size_vIXT1_EEEvE4typeEPT_S5_i
    .private_segment_fixed_size: 0
    .sgpr_count:     12
    .sgpr_spill_count: 0
    .symbol:         _Z24warp_reduce_valid_kernelI12hip_bfloat16Lj32ELj1EENSt9enable_ifIXsr10test_utilsE35device_test_enabled_for_warp_size_vIXT1_EEEvE4typeEPT_S5_i.kd
    .uniform_work_group_size: 1
    .uses_dynamic_stack: false
    .vgpr_count:     4
    .vgpr_spill_count: 0
    .wavefront_size: 64
  - .agpr_count:     0
    .args:
      - .address_space:  global
        .offset:         0
        .size:           8
        .value_kind:     global_buffer
      - .address_space:  global
        .offset:         8
        .size:           8
        .value_kind:     global_buffer
      - .offset:         16
        .size:           4
        .value_kind:     by_value
      - .offset:         24
        .size:           4
        .value_kind:     hidden_block_count_x
      - .offset:         28
        .size:           4
        .value_kind:     hidden_block_count_y
      - .offset:         32
        .size:           4
        .value_kind:     hidden_block_count_z
      - .offset:         36
        .size:           2
        .value_kind:     hidden_group_size_x
      - .offset:         38
        .size:           2
        .value_kind:     hidden_group_size_y
      - .offset:         40
        .size:           2
        .value_kind:     hidden_group_size_z
      - .offset:         42
        .size:           2
        .value_kind:     hidden_remainder_x
      - .offset:         44
        .size:           2
        .value_kind:     hidden_remainder_y
      - .offset:         46
        .size:           2
        .value_kind:     hidden_remainder_z
      - .offset:         64
        .size:           8
        .value_kind:     hidden_global_offset_x
      - .offset:         72
        .size:           8
        .value_kind:     hidden_global_offset_y
      - .offset:         80
        .size:           8
        .value_kind:     hidden_global_offset_z
      - .offset:         88
        .size:           2
        .value_kind:     hidden_grid_dims
    .group_segment_fixed_size: 0
    .kernarg_segment_align: 8
    .kernarg_segment_size: 280
    .language:       OpenCL C
    .language_version:
      - 2
      - 0
    .max_flat_workgroup_size: 64
    .name:           _Z24warp_reduce_valid_kernelI12hip_bfloat16Lj64ELj1EENSt9enable_ifIXsr10test_utilsE35device_test_enabled_for_warp_size_vIXT1_EEEvE4typeEPT_S5_i
    .private_segment_fixed_size: 0
    .sgpr_count:     12
    .sgpr_spill_count: 0
    .symbol:         _Z24warp_reduce_valid_kernelI12hip_bfloat16Lj64ELj1EENSt9enable_ifIXsr10test_utilsE35device_test_enabled_for_warp_size_vIXT1_EEEvE4typeEPT_S5_i.kd
    .uniform_work_group_size: 1
    .uses_dynamic_stack: false
    .vgpr_count:     4
    .vgpr_spill_count: 0
    .wavefront_size: 64
  - .agpr_count:     0
    .args:
      - .address_space:  global
        .offset:         0
        .size:           8
        .value_kind:     global_buffer
      - .address_space:  global
        .offset:         8
        .size:           8
        .value_kind:     global_buffer
      - .offset:         16
        .size:           4
        .value_kind:     by_value
      - .offset:         24
        .size:           4
        .value_kind:     hidden_block_count_x
      - .offset:         28
        .size:           4
        .value_kind:     hidden_block_count_y
      - .offset:         32
        .size:           4
        .value_kind:     hidden_block_count_z
      - .offset:         36
        .size:           2
        .value_kind:     hidden_group_size_x
      - .offset:         38
        .size:           2
        .value_kind:     hidden_group_size_y
      - .offset:         40
        .size:           2
        .value_kind:     hidden_group_size_z
      - .offset:         42
        .size:           2
        .value_kind:     hidden_remainder_x
      - .offset:         44
        .size:           2
        .value_kind:     hidden_remainder_y
      - .offset:         46
        .size:           2
        .value_kind:     hidden_remainder_z
      - .offset:         64
        .size:           8
        .value_kind:     hidden_global_offset_x
      - .offset:         72
        .size:           8
        .value_kind:     hidden_global_offset_y
      - .offset:         80
        .size:           8
        .value_kind:     hidden_global_offset_z
      - .offset:         88
        .size:           2
        .value_kind:     hidden_grid_dims
    .group_segment_fixed_size: 0
    .kernarg_segment_align: 8
    .kernarg_segment_size: 280
    .language:       OpenCL C
    .language_version:
      - 2
      - 0
    .max_flat_workgroup_size: 256
    .name:           _Z24warp_reduce_valid_kernelI6__halfLj256ELj64EENSt9enable_ifIXsr10test_utilsE35device_test_enabled_for_warp_size_vIXT1_EEEvE4typeEPT_S5_i
    .private_segment_fixed_size: 0
    .sgpr_count:     18
    .sgpr_spill_count: 0
    .symbol:         _Z24warp_reduce_valid_kernelI6__halfLj256ELj64EENSt9enable_ifIXsr10test_utilsE35device_test_enabled_for_warp_size_vIXT1_EEEvE4typeEPT_S5_i.kd
    .uniform_work_group_size: 1
    .uses_dynamic_stack: false
    .vgpr_count:     16
    .vgpr_spill_count: 0
    .wavefront_size: 64
  - .agpr_count:     0
    .args:
      - .address_space:  global
        .offset:         0
        .size:           8
        .value_kind:     global_buffer
      - .address_space:  global
        .offset:         8
        .size:           8
        .value_kind:     global_buffer
      - .offset:         16
        .size:           4
        .value_kind:     by_value
      - .offset:         24
        .size:           4
        .value_kind:     hidden_block_count_x
      - .offset:         28
        .size:           4
        .value_kind:     hidden_block_count_y
      - .offset:         32
        .size:           4
        .value_kind:     hidden_block_count_z
      - .offset:         36
        .size:           2
        .value_kind:     hidden_group_size_x
      - .offset:         38
        .size:           2
        .value_kind:     hidden_group_size_y
      - .offset:         40
        .size:           2
        .value_kind:     hidden_group_size_z
      - .offset:         42
        .size:           2
        .value_kind:     hidden_remainder_x
      - .offset:         44
        .size:           2
        .value_kind:     hidden_remainder_y
      - .offset:         46
        .size:           2
        .value_kind:     hidden_remainder_z
      - .offset:         64
        .size:           8
        .value_kind:     hidden_global_offset_x
      - .offset:         72
        .size:           8
        .value_kind:     hidden_global_offset_y
      - .offset:         80
        .size:           8
        .value_kind:     hidden_global_offset_z
      - .offset:         88
        .size:           2
        .value_kind:     hidden_grid_dims
    .group_segment_fixed_size: 0
    .kernarg_segment_align: 8
    .kernarg_segment_size: 280
    .language:       OpenCL C
    .language_version:
      - 2
      - 0
    .max_flat_workgroup_size: 128
    .name:           _Z24warp_reduce_valid_kernelI6__halfLj128ELj32EENSt9enable_ifIXsr10test_utilsE35device_test_enabled_for_warp_size_vIXT1_EEEvE4typeEPT_S5_i
    .private_segment_fixed_size: 0
    .sgpr_count:     17
    .sgpr_spill_count: 0
    .symbol:         _Z24warp_reduce_valid_kernelI6__halfLj128ELj32EENSt9enable_ifIXsr10test_utilsE35device_test_enabled_for_warp_size_vIXT1_EEEvE4typeEPT_S5_i.kd
    .uniform_work_group_size: 1
    .uses_dynamic_stack: false
    .vgpr_count:     14
    .vgpr_spill_count: 0
    .wavefront_size: 64
  - .agpr_count:     0
    .args:
      - .address_space:  global
        .offset:         0
        .size:           8
        .value_kind:     global_buffer
      - .address_space:  global
        .offset:         8
        .size:           8
        .value_kind:     global_buffer
      - .offset:         16
        .size:           4
        .value_kind:     by_value
      - .offset:         24
        .size:           4
        .value_kind:     hidden_block_count_x
      - .offset:         28
        .size:           4
        .value_kind:     hidden_block_count_y
      - .offset:         32
        .size:           4
        .value_kind:     hidden_block_count_z
      - .offset:         36
        .size:           2
        .value_kind:     hidden_group_size_x
      - .offset:         38
        .size:           2
        .value_kind:     hidden_group_size_y
      - .offset:         40
        .size:           2
        .value_kind:     hidden_group_size_z
      - .offset:         42
        .size:           2
        .value_kind:     hidden_remainder_x
      - .offset:         44
        .size:           2
        .value_kind:     hidden_remainder_y
      - .offset:         46
        .size:           2
        .value_kind:     hidden_remainder_z
      - .offset:         64
        .size:           8
        .value_kind:     hidden_global_offset_x
      - .offset:         72
        .size:           8
        .value_kind:     hidden_global_offset_y
      - .offset:         80
        .size:           8
        .value_kind:     hidden_global_offset_z
      - .offset:         88
        .size:           2
        .value_kind:     hidden_grid_dims
    .group_segment_fixed_size: 0
    .kernarg_segment_align: 8
    .kernarg_segment_size: 280
    .language:       OpenCL C
    .language_version:
      - 2
      - 0
    .max_flat_workgroup_size: 64
    .name:           _Z24warp_reduce_valid_kernelI6__halfLj64ELj16EENSt9enable_ifIXsr10test_utilsE35device_test_enabled_for_warp_size_vIXT1_EEEvE4typeEPT_S5_i
    .private_segment_fixed_size: 0
    .sgpr_count:     16
    .sgpr_spill_count: 0
    .symbol:         _Z24warp_reduce_valid_kernelI6__halfLj64ELj16EENSt9enable_ifIXsr10test_utilsE35device_test_enabled_for_warp_size_vIXT1_EEEvE4typeEPT_S5_i.kd
    .uniform_work_group_size: 1
    .uses_dynamic_stack: false
    .vgpr_count:     13
    .vgpr_spill_count: 0
    .wavefront_size: 64
  - .agpr_count:     0
    .args:
      - .address_space:  global
        .offset:         0
        .size:           8
        .value_kind:     global_buffer
      - .address_space:  global
        .offset:         8
        .size:           8
        .value_kind:     global_buffer
      - .offset:         16
        .size:           4
        .value_kind:     by_value
      - .offset:         24
        .size:           4
        .value_kind:     hidden_block_count_x
      - .offset:         28
        .size:           4
        .value_kind:     hidden_block_count_y
      - .offset:         32
        .size:           4
        .value_kind:     hidden_block_count_z
      - .offset:         36
        .size:           2
        .value_kind:     hidden_group_size_x
      - .offset:         38
        .size:           2
        .value_kind:     hidden_group_size_y
      - .offset:         40
        .size:           2
        .value_kind:     hidden_group_size_z
      - .offset:         42
        .size:           2
        .value_kind:     hidden_remainder_x
      - .offset:         44
        .size:           2
        .value_kind:     hidden_remainder_y
      - .offset:         46
        .size:           2
        .value_kind:     hidden_remainder_z
      - .offset:         64
        .size:           8
        .value_kind:     hidden_global_offset_x
      - .offset:         72
        .size:           8
        .value_kind:     hidden_global_offset_y
      - .offset:         80
        .size:           8
        .value_kind:     hidden_global_offset_z
      - .offset:         88
        .size:           2
        .value_kind:     hidden_grid_dims
    .group_segment_fixed_size: 0
    .kernarg_segment_align: 8
    .kernarg_segment_size: 280
    .language:       OpenCL C
    .language_version:
      - 2
      - 0
    .max_flat_workgroup_size: 32
    .name:           _Z24warp_reduce_valid_kernelI6__halfLj32ELj8EENSt9enable_ifIXsr10test_utilsE35device_test_enabled_for_warp_size_vIXT1_EEEvE4typeEPT_S5_i
    .private_segment_fixed_size: 0
    .sgpr_count:     13
    .sgpr_spill_count: 0
    .symbol:         _Z24warp_reduce_valid_kernelI6__halfLj32ELj8EENSt9enable_ifIXsr10test_utilsE35device_test_enabled_for_warp_size_vIXT1_EEEvE4typeEPT_S5_i.kd
    .uniform_work_group_size: 1
    .uses_dynamic_stack: false
    .vgpr_count:     11
    .vgpr_spill_count: 0
    .wavefront_size: 64
  - .agpr_count:     0
    .args:
      - .address_space:  global
        .offset:         0
        .size:           8
        .value_kind:     global_buffer
      - .address_space:  global
        .offset:         8
        .size:           8
        .value_kind:     global_buffer
      - .offset:         16
        .size:           4
        .value_kind:     by_value
      - .offset:         24
        .size:           4
        .value_kind:     hidden_block_count_x
      - .offset:         28
        .size:           4
        .value_kind:     hidden_block_count_y
      - .offset:         32
        .size:           4
        .value_kind:     hidden_block_count_z
      - .offset:         36
        .size:           2
        .value_kind:     hidden_group_size_x
      - .offset:         38
        .size:           2
        .value_kind:     hidden_group_size_y
      - .offset:         40
        .size:           2
        .value_kind:     hidden_group_size_z
      - .offset:         42
        .size:           2
        .value_kind:     hidden_remainder_x
      - .offset:         44
        .size:           2
        .value_kind:     hidden_remainder_y
      - .offset:         46
        .size:           2
        .value_kind:     hidden_remainder_z
      - .offset:         64
        .size:           8
        .value_kind:     hidden_global_offset_x
      - .offset:         72
        .size:           8
        .value_kind:     hidden_global_offset_y
      - .offset:         80
        .size:           8
        .value_kind:     hidden_global_offset_z
      - .offset:         88
        .size:           2
        .value_kind:     hidden_grid_dims
    .group_segment_fixed_size: 0
    .kernarg_segment_align: 8
    .kernarg_segment_size: 280
    .language:       OpenCL C
    .language_version:
      - 2
      - 0
    .max_flat_workgroup_size: 64
    .name:           _Z24warp_reduce_valid_kernelI6__halfLj64ELj8EENSt9enable_ifIXsr10test_utilsE35device_test_enabled_for_warp_size_vIXT1_EEEvE4typeEPT_S5_i
    .private_segment_fixed_size: 0
    .sgpr_count:     13
    .sgpr_spill_count: 0
    .symbol:         _Z24warp_reduce_valid_kernelI6__halfLj64ELj8EENSt9enable_ifIXsr10test_utilsE35device_test_enabled_for_warp_size_vIXT1_EEEvE4typeEPT_S5_i.kd
    .uniform_work_group_size: 1
    .uses_dynamic_stack: false
    .vgpr_count:     11
    .vgpr_spill_count: 0
    .wavefront_size: 64
  - .agpr_count:     0
    .args:
      - .address_space:  global
        .offset:         0
        .size:           8
        .value_kind:     global_buffer
      - .address_space:  global
        .offset:         8
        .size:           8
        .value_kind:     global_buffer
      - .offset:         16
        .size:           4
        .value_kind:     by_value
      - .offset:         24
        .size:           4
        .value_kind:     hidden_block_count_x
      - .offset:         28
        .size:           4
        .value_kind:     hidden_block_count_y
      - .offset:         32
        .size:           4
        .value_kind:     hidden_block_count_z
      - .offset:         36
        .size:           2
        .value_kind:     hidden_group_size_x
      - .offset:         38
        .size:           2
        .value_kind:     hidden_group_size_y
      - .offset:         40
        .size:           2
        .value_kind:     hidden_group_size_z
      - .offset:         42
        .size:           2
        .value_kind:     hidden_remainder_x
      - .offset:         44
        .size:           2
        .value_kind:     hidden_remainder_y
      - .offset:         46
        .size:           2
        .value_kind:     hidden_remainder_z
      - .offset:         64
        .size:           8
        .value_kind:     hidden_global_offset_x
      - .offset:         72
        .size:           8
        .value_kind:     hidden_global_offset_y
      - .offset:         80
        .size:           8
        .value_kind:     hidden_global_offset_z
      - .offset:         88
        .size:           2
        .value_kind:     hidden_grid_dims
    .group_segment_fixed_size: 0
    .kernarg_segment_align: 8
    .kernarg_segment_size: 280
    .language:       OpenCL C
    .language_version:
      - 2
      - 0
    .max_flat_workgroup_size: 32
    .name:           _Z24warp_reduce_valid_kernelI6__halfLj32ELj4EENSt9enable_ifIXsr10test_utilsE35device_test_enabled_for_warp_size_vIXT1_EEEvE4typeEPT_S5_i
    .private_segment_fixed_size: 0
    .sgpr_count:     13
    .sgpr_spill_count: 0
    .symbol:         _Z24warp_reduce_valid_kernelI6__halfLj32ELj4EENSt9enable_ifIXsr10test_utilsE35device_test_enabled_for_warp_size_vIXT1_EEEvE4typeEPT_S5_i.kd
    .uniform_work_group_size: 1
    .uses_dynamic_stack: false
    .vgpr_count:     9
    .vgpr_spill_count: 0
    .wavefront_size: 64
  - .agpr_count:     0
    .args:
      - .address_space:  global
        .offset:         0
        .size:           8
        .value_kind:     global_buffer
      - .address_space:  global
        .offset:         8
        .size:           8
        .value_kind:     global_buffer
      - .offset:         16
        .size:           4
        .value_kind:     by_value
      - .offset:         24
        .size:           4
        .value_kind:     hidden_block_count_x
      - .offset:         28
        .size:           4
        .value_kind:     hidden_block_count_y
      - .offset:         32
        .size:           4
        .value_kind:     hidden_block_count_z
      - .offset:         36
        .size:           2
        .value_kind:     hidden_group_size_x
      - .offset:         38
        .size:           2
        .value_kind:     hidden_group_size_y
      - .offset:         40
        .size:           2
        .value_kind:     hidden_group_size_z
      - .offset:         42
        .size:           2
        .value_kind:     hidden_remainder_x
      - .offset:         44
        .size:           2
        .value_kind:     hidden_remainder_y
      - .offset:         46
        .size:           2
        .value_kind:     hidden_remainder_z
      - .offset:         64
        .size:           8
        .value_kind:     hidden_global_offset_x
      - .offset:         72
        .size:           8
        .value_kind:     hidden_global_offset_y
      - .offset:         80
        .size:           8
        .value_kind:     hidden_global_offset_z
      - .offset:         88
        .size:           2
        .value_kind:     hidden_grid_dims
    .group_segment_fixed_size: 0
    .kernarg_segment_align: 8
    .kernarg_segment_size: 280
    .language:       OpenCL C
    .language_version:
      - 2
      - 0
    .max_flat_workgroup_size: 64
    .name:           _Z24warp_reduce_valid_kernelI6__halfLj64ELj4EENSt9enable_ifIXsr10test_utilsE35device_test_enabled_for_warp_size_vIXT1_EEEvE4typeEPT_S5_i
    .private_segment_fixed_size: 0
    .sgpr_count:     13
    .sgpr_spill_count: 0
    .symbol:         _Z24warp_reduce_valid_kernelI6__halfLj64ELj4EENSt9enable_ifIXsr10test_utilsE35device_test_enabled_for_warp_size_vIXT1_EEEvE4typeEPT_S5_i.kd
    .uniform_work_group_size: 1
    .uses_dynamic_stack: false
    .vgpr_count:     9
    .vgpr_spill_count: 0
    .wavefront_size: 64
  - .agpr_count:     0
    .args:
      - .address_space:  global
        .offset:         0
        .size:           8
        .value_kind:     global_buffer
      - .address_space:  global
        .offset:         8
        .size:           8
        .value_kind:     global_buffer
      - .offset:         16
        .size:           4
        .value_kind:     by_value
      - .offset:         24
        .size:           4
        .value_kind:     hidden_block_count_x
      - .offset:         28
        .size:           4
        .value_kind:     hidden_block_count_y
      - .offset:         32
        .size:           4
        .value_kind:     hidden_block_count_z
      - .offset:         36
        .size:           2
        .value_kind:     hidden_group_size_x
      - .offset:         38
        .size:           2
        .value_kind:     hidden_group_size_y
      - .offset:         40
        .size:           2
        .value_kind:     hidden_group_size_z
      - .offset:         42
        .size:           2
        .value_kind:     hidden_remainder_x
      - .offset:         44
        .size:           2
        .value_kind:     hidden_remainder_y
      - .offset:         46
        .size:           2
        .value_kind:     hidden_remainder_z
      - .offset:         64
        .size:           8
        .value_kind:     hidden_global_offset_x
      - .offset:         72
        .size:           8
        .value_kind:     hidden_global_offset_y
      - .offset:         80
        .size:           8
        .value_kind:     hidden_global_offset_z
      - .offset:         88
        .size:           2
        .value_kind:     hidden_grid_dims
    .group_segment_fixed_size: 0
    .kernarg_segment_align: 8
    .kernarg_segment_size: 280
    .language:       OpenCL C
    .language_version:
      - 2
      - 0
    .max_flat_workgroup_size: 32
    .name:           _Z24warp_reduce_valid_kernelI6__halfLj32ELj2EENSt9enable_ifIXsr10test_utilsE35device_test_enabled_for_warp_size_vIXT1_EEEvE4typeEPT_S5_i
    .private_segment_fixed_size: 0
    .sgpr_count:     12
    .sgpr_spill_count: 0
    .symbol:         _Z24warp_reduce_valid_kernelI6__halfLj32ELj2EENSt9enable_ifIXsr10test_utilsE35device_test_enabled_for_warp_size_vIXT1_EEEvE4typeEPT_S5_i.kd
    .uniform_work_group_size: 1
    .uses_dynamic_stack: false
    .vgpr_count:     6
    .vgpr_spill_count: 0
    .wavefront_size: 64
  - .agpr_count:     0
    .args:
      - .address_space:  global
        .offset:         0
        .size:           8
        .value_kind:     global_buffer
      - .address_space:  global
        .offset:         8
        .size:           8
        .value_kind:     global_buffer
      - .offset:         16
        .size:           4
        .value_kind:     by_value
      - .offset:         24
        .size:           4
        .value_kind:     hidden_block_count_x
      - .offset:         28
        .size:           4
        .value_kind:     hidden_block_count_y
      - .offset:         32
        .size:           4
        .value_kind:     hidden_block_count_z
      - .offset:         36
        .size:           2
        .value_kind:     hidden_group_size_x
      - .offset:         38
        .size:           2
        .value_kind:     hidden_group_size_y
      - .offset:         40
        .size:           2
        .value_kind:     hidden_group_size_z
      - .offset:         42
        .size:           2
        .value_kind:     hidden_remainder_x
      - .offset:         44
        .size:           2
        .value_kind:     hidden_remainder_y
      - .offset:         46
        .size:           2
        .value_kind:     hidden_remainder_z
      - .offset:         64
        .size:           8
        .value_kind:     hidden_global_offset_x
      - .offset:         72
        .size:           8
        .value_kind:     hidden_global_offset_y
      - .offset:         80
        .size:           8
        .value_kind:     hidden_global_offset_z
      - .offset:         88
        .size:           2
        .value_kind:     hidden_grid_dims
    .group_segment_fixed_size: 0
    .kernarg_segment_align: 8
    .kernarg_segment_size: 280
    .language:       OpenCL C
    .language_version:
      - 2
      - 0
    .max_flat_workgroup_size: 64
    .name:           _Z24warp_reduce_valid_kernelI6__halfLj64ELj2EENSt9enable_ifIXsr10test_utilsE35device_test_enabled_for_warp_size_vIXT1_EEEvE4typeEPT_S5_i
    .private_segment_fixed_size: 0
    .sgpr_count:     12
    .sgpr_spill_count: 0
    .symbol:         _Z24warp_reduce_valid_kernelI6__halfLj64ELj2EENSt9enable_ifIXsr10test_utilsE35device_test_enabled_for_warp_size_vIXT1_EEEvE4typeEPT_S5_i.kd
    .uniform_work_group_size: 1
    .uses_dynamic_stack: false
    .vgpr_count:     6
    .vgpr_spill_count: 0
    .wavefront_size: 64
  - .agpr_count:     0
    .args:
      - .address_space:  global
        .offset:         0
        .size:           8
        .value_kind:     global_buffer
      - .address_space:  global
        .offset:         8
        .size:           8
        .value_kind:     global_buffer
      - .offset:         16
        .size:           4
        .value_kind:     by_value
      - .offset:         24
        .size:           4
        .value_kind:     hidden_block_count_x
      - .offset:         28
        .size:           4
        .value_kind:     hidden_block_count_y
      - .offset:         32
        .size:           4
        .value_kind:     hidden_block_count_z
      - .offset:         36
        .size:           2
        .value_kind:     hidden_group_size_x
      - .offset:         38
        .size:           2
        .value_kind:     hidden_group_size_y
      - .offset:         40
        .size:           2
        .value_kind:     hidden_group_size_z
      - .offset:         42
        .size:           2
        .value_kind:     hidden_remainder_x
      - .offset:         44
        .size:           2
        .value_kind:     hidden_remainder_y
      - .offset:         46
        .size:           2
        .value_kind:     hidden_remainder_z
      - .offset:         64
        .size:           8
        .value_kind:     hidden_global_offset_x
      - .offset:         72
        .size:           8
        .value_kind:     hidden_global_offset_y
      - .offset:         80
        .size:           8
        .value_kind:     hidden_global_offset_z
      - .offset:         88
        .size:           2
        .value_kind:     hidden_grid_dims
    .group_segment_fixed_size: 0
    .kernarg_segment_align: 8
    .kernarg_segment_size: 280
    .language:       OpenCL C
    .language_version:
      - 2
      - 0
    .max_flat_workgroup_size: 32
    .name:           _Z24warp_reduce_valid_kernelI6__halfLj32ELj1EENSt9enable_ifIXsr10test_utilsE35device_test_enabled_for_warp_size_vIXT1_EEEvE4typeEPT_S5_i
    .private_segment_fixed_size: 0
    .sgpr_count:     12
    .sgpr_spill_count: 0
    .symbol:         _Z24warp_reduce_valid_kernelI6__halfLj32ELj1EENSt9enable_ifIXsr10test_utilsE35device_test_enabled_for_warp_size_vIXT1_EEEvE4typeEPT_S5_i.kd
    .uniform_work_group_size: 1
    .uses_dynamic_stack: false
    .vgpr_count:     4
    .vgpr_spill_count: 0
    .wavefront_size: 64
  - .agpr_count:     0
    .args:
      - .address_space:  global
        .offset:         0
        .size:           8
        .value_kind:     global_buffer
      - .address_space:  global
        .offset:         8
        .size:           8
        .value_kind:     global_buffer
      - .offset:         16
        .size:           4
        .value_kind:     by_value
      - .offset:         24
        .size:           4
        .value_kind:     hidden_block_count_x
      - .offset:         28
        .size:           4
        .value_kind:     hidden_block_count_y
      - .offset:         32
        .size:           4
        .value_kind:     hidden_block_count_z
      - .offset:         36
        .size:           2
        .value_kind:     hidden_group_size_x
      - .offset:         38
        .size:           2
        .value_kind:     hidden_group_size_y
      - .offset:         40
        .size:           2
        .value_kind:     hidden_group_size_z
      - .offset:         42
        .size:           2
        .value_kind:     hidden_remainder_x
      - .offset:         44
        .size:           2
        .value_kind:     hidden_remainder_y
      - .offset:         46
        .size:           2
        .value_kind:     hidden_remainder_z
      - .offset:         64
        .size:           8
        .value_kind:     hidden_global_offset_x
      - .offset:         72
        .size:           8
        .value_kind:     hidden_global_offset_y
      - .offset:         80
        .size:           8
        .value_kind:     hidden_global_offset_z
      - .offset:         88
        .size:           2
        .value_kind:     hidden_grid_dims
    .group_segment_fixed_size: 0
    .kernarg_segment_align: 8
    .kernarg_segment_size: 280
    .language:       OpenCL C
    .language_version:
      - 2
      - 0
    .max_flat_workgroup_size: 64
    .name:           _Z24warp_reduce_valid_kernelI6__halfLj64ELj1EENSt9enable_ifIXsr10test_utilsE35device_test_enabled_for_warp_size_vIXT1_EEEvE4typeEPT_S5_i
    .private_segment_fixed_size: 0
    .sgpr_count:     12
    .sgpr_spill_count: 0
    .symbol:         _Z24warp_reduce_valid_kernelI6__halfLj64ELj1EENSt9enable_ifIXsr10test_utilsE35device_test_enabled_for_warp_size_vIXT1_EEEvE4typeEPT_S5_i.kd
    .uniform_work_group_size: 1
    .uses_dynamic_stack: false
    .vgpr_count:     4
    .vgpr_spill_count: 0
    .wavefront_size: 64
  - .agpr_count:     0
    .args:
      - .address_space:  global
        .offset:         0
        .size:           8
        .value_kind:     global_buffer
      - .address_space:  global
        .offset:         8
        .size:           8
        .value_kind:     global_buffer
      - .offset:         16
        .size:           4
        .value_kind:     by_value
      - .offset:         24
        .size:           4
        .value_kind:     hidden_block_count_x
      - .offset:         28
        .size:           4
        .value_kind:     hidden_block_count_y
      - .offset:         32
        .size:           4
        .value_kind:     hidden_block_count_z
      - .offset:         36
        .size:           2
        .value_kind:     hidden_group_size_x
      - .offset:         38
        .size:           2
        .value_kind:     hidden_group_size_y
      - .offset:         40
        .size:           2
        .value_kind:     hidden_group_size_z
      - .offset:         42
        .size:           2
        .value_kind:     hidden_remainder_x
      - .offset:         44
        .size:           2
        .value_kind:     hidden_remainder_y
      - .offset:         46
        .size:           2
        .value_kind:     hidden_remainder_z
      - .offset:         64
        .size:           8
        .value_kind:     hidden_global_offset_x
      - .offset:         72
        .size:           8
        .value_kind:     hidden_global_offset_y
      - .offset:         80
        .size:           8
        .value_kind:     hidden_global_offset_z
      - .offset:         88
        .size:           2
        .value_kind:     hidden_grid_dims
    .group_segment_fixed_size: 0
    .kernarg_segment_align: 8
    .kernarg_segment_size: 280
    .language:       OpenCL C
    .language_version:
      - 2
      - 0
    .max_flat_workgroup_size: 256
    .name:           _Z24warp_reduce_valid_kernelIfLj256ELj64EENSt9enable_ifIXsr10test_utilsE35device_test_enabled_for_warp_size_vIXT1_EEEvE4typeEPT_S4_i
    .private_segment_fixed_size: 0
    .sgpr_count:     13
    .sgpr_spill_count: 0
    .symbol:         _Z24warp_reduce_valid_kernelIfLj256ELj64EENSt9enable_ifIXsr10test_utilsE35device_test_enabled_for_warp_size_vIXT1_EEEvE4typeEPT_S4_i.kd
    .uniform_work_group_size: 1
    .uses_dynamic_stack: false
    .vgpr_count:     11
    .vgpr_spill_count: 0
    .wavefront_size: 64
  - .agpr_count:     0
    .args:
      - .address_space:  global
        .offset:         0
        .size:           8
        .value_kind:     global_buffer
      - .address_space:  global
        .offset:         8
        .size:           8
        .value_kind:     global_buffer
      - .offset:         16
        .size:           4
        .value_kind:     by_value
      - .offset:         24
        .size:           4
        .value_kind:     hidden_block_count_x
      - .offset:         28
        .size:           4
        .value_kind:     hidden_block_count_y
      - .offset:         32
        .size:           4
        .value_kind:     hidden_block_count_z
      - .offset:         36
        .size:           2
        .value_kind:     hidden_group_size_x
      - .offset:         38
        .size:           2
        .value_kind:     hidden_group_size_y
      - .offset:         40
        .size:           2
        .value_kind:     hidden_group_size_z
      - .offset:         42
        .size:           2
        .value_kind:     hidden_remainder_x
      - .offset:         44
        .size:           2
        .value_kind:     hidden_remainder_y
      - .offset:         46
        .size:           2
        .value_kind:     hidden_remainder_z
      - .offset:         64
        .size:           8
        .value_kind:     hidden_global_offset_x
      - .offset:         72
        .size:           8
        .value_kind:     hidden_global_offset_y
      - .offset:         80
        .size:           8
        .value_kind:     hidden_global_offset_z
      - .offset:         88
        .size:           2
        .value_kind:     hidden_grid_dims
    .group_segment_fixed_size: 0
    .kernarg_segment_align: 8
    .kernarg_segment_size: 280
    .language:       OpenCL C
    .language_version:
      - 2
      - 0
    .max_flat_workgroup_size: 128
    .name:           _Z24warp_reduce_valid_kernelIfLj128ELj32EENSt9enable_ifIXsr10test_utilsE35device_test_enabled_for_warp_size_vIXT1_EEEvE4typeEPT_S4_i
    .private_segment_fixed_size: 0
    .sgpr_count:     13
    .sgpr_spill_count: 0
    .symbol:         _Z24warp_reduce_valid_kernelIfLj128ELj32EENSt9enable_ifIXsr10test_utilsE35device_test_enabled_for_warp_size_vIXT1_EEEvE4typeEPT_S4_i.kd
    .uniform_work_group_size: 1
    .uses_dynamic_stack: false
    .vgpr_count:     10
    .vgpr_spill_count: 0
    .wavefront_size: 64
  - .agpr_count:     0
    .args:
      - .address_space:  global
        .offset:         0
        .size:           8
        .value_kind:     global_buffer
      - .address_space:  global
        .offset:         8
        .size:           8
        .value_kind:     global_buffer
      - .offset:         16
        .size:           4
        .value_kind:     by_value
      - .offset:         24
        .size:           4
        .value_kind:     hidden_block_count_x
      - .offset:         28
        .size:           4
        .value_kind:     hidden_block_count_y
      - .offset:         32
        .size:           4
        .value_kind:     hidden_block_count_z
      - .offset:         36
        .size:           2
        .value_kind:     hidden_group_size_x
      - .offset:         38
        .size:           2
        .value_kind:     hidden_group_size_y
      - .offset:         40
        .size:           2
        .value_kind:     hidden_group_size_z
      - .offset:         42
        .size:           2
        .value_kind:     hidden_remainder_x
      - .offset:         44
        .size:           2
        .value_kind:     hidden_remainder_y
      - .offset:         46
        .size:           2
        .value_kind:     hidden_remainder_z
      - .offset:         64
        .size:           8
        .value_kind:     hidden_global_offset_x
      - .offset:         72
        .size:           8
        .value_kind:     hidden_global_offset_y
      - .offset:         80
        .size:           8
        .value_kind:     hidden_global_offset_z
      - .offset:         88
        .size:           2
        .value_kind:     hidden_grid_dims
    .group_segment_fixed_size: 0
    .kernarg_segment_align: 8
    .kernarg_segment_size: 280
    .language:       OpenCL C
    .language_version:
      - 2
      - 0
    .max_flat_workgroup_size: 64
    .name:           _Z24warp_reduce_valid_kernelIfLj64ELj16EENSt9enable_ifIXsr10test_utilsE35device_test_enabled_for_warp_size_vIXT1_EEEvE4typeEPT_S4_i
    .private_segment_fixed_size: 0
    .sgpr_count:     13
    .sgpr_spill_count: 0
    .symbol:         _Z24warp_reduce_valid_kernelIfLj64ELj16EENSt9enable_ifIXsr10test_utilsE35device_test_enabled_for_warp_size_vIXT1_EEEvE4typeEPT_S4_i.kd
    .uniform_work_group_size: 1
    .uses_dynamic_stack: false
    .vgpr_count:     9
    .vgpr_spill_count: 0
    .wavefront_size: 64
  - .agpr_count:     0
    .args:
      - .address_space:  global
        .offset:         0
        .size:           8
        .value_kind:     global_buffer
      - .address_space:  global
        .offset:         8
        .size:           8
        .value_kind:     global_buffer
      - .offset:         16
        .size:           4
        .value_kind:     by_value
      - .offset:         24
        .size:           4
        .value_kind:     hidden_block_count_x
      - .offset:         28
        .size:           4
        .value_kind:     hidden_block_count_y
      - .offset:         32
        .size:           4
        .value_kind:     hidden_block_count_z
      - .offset:         36
        .size:           2
        .value_kind:     hidden_group_size_x
      - .offset:         38
        .size:           2
        .value_kind:     hidden_group_size_y
      - .offset:         40
        .size:           2
        .value_kind:     hidden_group_size_z
      - .offset:         42
        .size:           2
        .value_kind:     hidden_remainder_x
      - .offset:         44
        .size:           2
        .value_kind:     hidden_remainder_y
      - .offset:         46
        .size:           2
        .value_kind:     hidden_remainder_z
      - .offset:         64
        .size:           8
        .value_kind:     hidden_global_offset_x
      - .offset:         72
        .size:           8
        .value_kind:     hidden_global_offset_y
      - .offset:         80
        .size:           8
        .value_kind:     hidden_global_offset_z
      - .offset:         88
        .size:           2
        .value_kind:     hidden_grid_dims
    .group_segment_fixed_size: 0
    .kernarg_segment_align: 8
    .kernarg_segment_size: 280
    .language:       OpenCL C
    .language_version:
      - 2
      - 0
    .max_flat_workgroup_size: 32
    .name:           _Z24warp_reduce_valid_kernelIfLj32ELj8EENSt9enable_ifIXsr10test_utilsE35device_test_enabled_for_warp_size_vIXT1_EEEvE4typeEPT_S4_i
    .private_segment_fixed_size: 0
    .sgpr_count:     13
    .sgpr_spill_count: 0
    .symbol:         _Z24warp_reduce_valid_kernelIfLj32ELj8EENSt9enable_ifIXsr10test_utilsE35device_test_enabled_for_warp_size_vIXT1_EEEvE4typeEPT_S4_i.kd
    .uniform_work_group_size: 1
    .uses_dynamic_stack: false
    .vgpr_count:     9
    .vgpr_spill_count: 0
    .wavefront_size: 64
  - .agpr_count:     0
    .args:
      - .address_space:  global
        .offset:         0
        .size:           8
        .value_kind:     global_buffer
      - .address_space:  global
        .offset:         8
        .size:           8
        .value_kind:     global_buffer
      - .offset:         16
        .size:           4
        .value_kind:     by_value
      - .offset:         24
        .size:           4
        .value_kind:     hidden_block_count_x
      - .offset:         28
        .size:           4
        .value_kind:     hidden_block_count_y
      - .offset:         32
        .size:           4
        .value_kind:     hidden_block_count_z
      - .offset:         36
        .size:           2
        .value_kind:     hidden_group_size_x
      - .offset:         38
        .size:           2
        .value_kind:     hidden_group_size_y
      - .offset:         40
        .size:           2
        .value_kind:     hidden_group_size_z
      - .offset:         42
        .size:           2
        .value_kind:     hidden_remainder_x
      - .offset:         44
        .size:           2
        .value_kind:     hidden_remainder_y
      - .offset:         46
        .size:           2
        .value_kind:     hidden_remainder_z
      - .offset:         64
        .size:           8
        .value_kind:     hidden_global_offset_x
      - .offset:         72
        .size:           8
        .value_kind:     hidden_global_offset_y
      - .offset:         80
        .size:           8
        .value_kind:     hidden_global_offset_z
      - .offset:         88
        .size:           2
        .value_kind:     hidden_grid_dims
    .group_segment_fixed_size: 0
    .kernarg_segment_align: 8
    .kernarg_segment_size: 280
    .language:       OpenCL C
    .language_version:
      - 2
      - 0
    .max_flat_workgroup_size: 64
    .name:           _Z24warp_reduce_valid_kernelIfLj64ELj8EENSt9enable_ifIXsr10test_utilsE35device_test_enabled_for_warp_size_vIXT1_EEEvE4typeEPT_S4_i
    .private_segment_fixed_size: 0
    .sgpr_count:     13
    .sgpr_spill_count: 0
    .symbol:         _Z24warp_reduce_valid_kernelIfLj64ELj8EENSt9enable_ifIXsr10test_utilsE35device_test_enabled_for_warp_size_vIXT1_EEEvE4typeEPT_S4_i.kd
    .uniform_work_group_size: 1
    .uses_dynamic_stack: false
    .vgpr_count:     9
    .vgpr_spill_count: 0
    .wavefront_size: 64
  - .agpr_count:     0
    .args:
      - .address_space:  global
        .offset:         0
        .size:           8
        .value_kind:     global_buffer
      - .address_space:  global
        .offset:         8
        .size:           8
        .value_kind:     global_buffer
      - .offset:         16
        .size:           4
        .value_kind:     by_value
      - .offset:         24
        .size:           4
        .value_kind:     hidden_block_count_x
      - .offset:         28
        .size:           4
        .value_kind:     hidden_block_count_y
      - .offset:         32
        .size:           4
        .value_kind:     hidden_block_count_z
      - .offset:         36
        .size:           2
        .value_kind:     hidden_group_size_x
      - .offset:         38
        .size:           2
        .value_kind:     hidden_group_size_y
      - .offset:         40
        .size:           2
        .value_kind:     hidden_group_size_z
      - .offset:         42
        .size:           2
        .value_kind:     hidden_remainder_x
      - .offset:         44
        .size:           2
        .value_kind:     hidden_remainder_y
      - .offset:         46
        .size:           2
        .value_kind:     hidden_remainder_z
      - .offset:         64
        .size:           8
        .value_kind:     hidden_global_offset_x
      - .offset:         72
        .size:           8
        .value_kind:     hidden_global_offset_y
      - .offset:         80
        .size:           8
        .value_kind:     hidden_global_offset_z
      - .offset:         88
        .size:           2
        .value_kind:     hidden_grid_dims
    .group_segment_fixed_size: 0
    .kernarg_segment_align: 8
    .kernarg_segment_size: 280
    .language:       OpenCL C
    .language_version:
      - 2
      - 0
    .max_flat_workgroup_size: 32
    .name:           _Z24warp_reduce_valid_kernelIfLj32ELj4EENSt9enable_ifIXsr10test_utilsE35device_test_enabled_for_warp_size_vIXT1_EEEvE4typeEPT_S4_i
    .private_segment_fixed_size: 0
    .sgpr_count:     13
    .sgpr_spill_count: 0
    .symbol:         _Z24warp_reduce_valid_kernelIfLj32ELj4EENSt9enable_ifIXsr10test_utilsE35device_test_enabled_for_warp_size_vIXT1_EEEvE4typeEPT_S4_i.kd
    .uniform_work_group_size: 1
    .uses_dynamic_stack: false
    .vgpr_count:     8
    .vgpr_spill_count: 0
    .wavefront_size: 64
  - .agpr_count:     0
    .args:
      - .address_space:  global
        .offset:         0
        .size:           8
        .value_kind:     global_buffer
      - .address_space:  global
        .offset:         8
        .size:           8
        .value_kind:     global_buffer
      - .offset:         16
        .size:           4
        .value_kind:     by_value
      - .offset:         24
        .size:           4
        .value_kind:     hidden_block_count_x
      - .offset:         28
        .size:           4
        .value_kind:     hidden_block_count_y
      - .offset:         32
        .size:           4
        .value_kind:     hidden_block_count_z
      - .offset:         36
        .size:           2
        .value_kind:     hidden_group_size_x
      - .offset:         38
        .size:           2
        .value_kind:     hidden_group_size_y
      - .offset:         40
        .size:           2
        .value_kind:     hidden_group_size_z
      - .offset:         42
        .size:           2
        .value_kind:     hidden_remainder_x
      - .offset:         44
        .size:           2
        .value_kind:     hidden_remainder_y
      - .offset:         46
        .size:           2
        .value_kind:     hidden_remainder_z
      - .offset:         64
        .size:           8
        .value_kind:     hidden_global_offset_x
      - .offset:         72
        .size:           8
        .value_kind:     hidden_global_offset_y
      - .offset:         80
        .size:           8
        .value_kind:     hidden_global_offset_z
      - .offset:         88
        .size:           2
        .value_kind:     hidden_grid_dims
    .group_segment_fixed_size: 0
    .kernarg_segment_align: 8
    .kernarg_segment_size: 280
    .language:       OpenCL C
    .language_version:
      - 2
      - 0
    .max_flat_workgroup_size: 64
    .name:           _Z24warp_reduce_valid_kernelIfLj64ELj4EENSt9enable_ifIXsr10test_utilsE35device_test_enabled_for_warp_size_vIXT1_EEEvE4typeEPT_S4_i
    .private_segment_fixed_size: 0
    .sgpr_count:     13
    .sgpr_spill_count: 0
    .symbol:         _Z24warp_reduce_valid_kernelIfLj64ELj4EENSt9enable_ifIXsr10test_utilsE35device_test_enabled_for_warp_size_vIXT1_EEEvE4typeEPT_S4_i.kd
    .uniform_work_group_size: 1
    .uses_dynamic_stack: false
    .vgpr_count:     8
    .vgpr_spill_count: 0
    .wavefront_size: 64
  - .agpr_count:     0
    .args:
      - .address_space:  global
        .offset:         0
        .size:           8
        .value_kind:     global_buffer
      - .address_space:  global
        .offset:         8
        .size:           8
        .value_kind:     global_buffer
      - .offset:         16
        .size:           4
        .value_kind:     by_value
      - .offset:         24
        .size:           4
        .value_kind:     hidden_block_count_x
      - .offset:         28
        .size:           4
        .value_kind:     hidden_block_count_y
      - .offset:         32
        .size:           4
        .value_kind:     hidden_block_count_z
      - .offset:         36
        .size:           2
        .value_kind:     hidden_group_size_x
      - .offset:         38
        .size:           2
        .value_kind:     hidden_group_size_y
      - .offset:         40
        .size:           2
        .value_kind:     hidden_group_size_z
      - .offset:         42
        .size:           2
        .value_kind:     hidden_remainder_x
      - .offset:         44
        .size:           2
        .value_kind:     hidden_remainder_y
      - .offset:         46
        .size:           2
        .value_kind:     hidden_remainder_z
      - .offset:         64
        .size:           8
        .value_kind:     hidden_global_offset_x
      - .offset:         72
        .size:           8
        .value_kind:     hidden_global_offset_y
      - .offset:         80
        .size:           8
        .value_kind:     hidden_global_offset_z
      - .offset:         88
        .size:           2
        .value_kind:     hidden_grid_dims
    .group_segment_fixed_size: 0
    .kernarg_segment_align: 8
    .kernarg_segment_size: 280
    .language:       OpenCL C
    .language_version:
      - 2
      - 0
    .max_flat_workgroup_size: 32
    .name:           _Z24warp_reduce_valid_kernelIfLj32ELj2EENSt9enable_ifIXsr10test_utilsE35device_test_enabled_for_warp_size_vIXT1_EEEvE4typeEPT_S4_i
    .private_segment_fixed_size: 0
    .sgpr_count:     12
    .sgpr_spill_count: 0
    .symbol:         _Z24warp_reduce_valid_kernelIfLj32ELj2EENSt9enable_ifIXsr10test_utilsE35device_test_enabled_for_warp_size_vIXT1_EEEvE4typeEPT_S4_i.kd
    .uniform_work_group_size: 1
    .uses_dynamic_stack: false
    .vgpr_count:     6
    .vgpr_spill_count: 0
    .wavefront_size: 64
  - .agpr_count:     0
    .args:
      - .address_space:  global
        .offset:         0
        .size:           8
        .value_kind:     global_buffer
      - .address_space:  global
        .offset:         8
        .size:           8
        .value_kind:     global_buffer
      - .offset:         16
        .size:           4
        .value_kind:     by_value
      - .offset:         24
        .size:           4
        .value_kind:     hidden_block_count_x
      - .offset:         28
        .size:           4
        .value_kind:     hidden_block_count_y
      - .offset:         32
        .size:           4
        .value_kind:     hidden_block_count_z
      - .offset:         36
        .size:           2
        .value_kind:     hidden_group_size_x
      - .offset:         38
        .size:           2
        .value_kind:     hidden_group_size_y
      - .offset:         40
        .size:           2
        .value_kind:     hidden_group_size_z
      - .offset:         42
        .size:           2
        .value_kind:     hidden_remainder_x
      - .offset:         44
        .size:           2
        .value_kind:     hidden_remainder_y
      - .offset:         46
        .size:           2
        .value_kind:     hidden_remainder_z
      - .offset:         64
        .size:           8
        .value_kind:     hidden_global_offset_x
      - .offset:         72
        .size:           8
        .value_kind:     hidden_global_offset_y
      - .offset:         80
        .size:           8
        .value_kind:     hidden_global_offset_z
      - .offset:         88
        .size:           2
        .value_kind:     hidden_grid_dims
    .group_segment_fixed_size: 0
    .kernarg_segment_align: 8
    .kernarg_segment_size: 280
    .language:       OpenCL C
    .language_version:
      - 2
      - 0
    .max_flat_workgroup_size: 64
    .name:           _Z24warp_reduce_valid_kernelIfLj64ELj2EENSt9enable_ifIXsr10test_utilsE35device_test_enabled_for_warp_size_vIXT1_EEEvE4typeEPT_S4_i
    .private_segment_fixed_size: 0
    .sgpr_count:     12
    .sgpr_spill_count: 0
    .symbol:         _Z24warp_reduce_valid_kernelIfLj64ELj2EENSt9enable_ifIXsr10test_utilsE35device_test_enabled_for_warp_size_vIXT1_EEEvE4typeEPT_S4_i.kd
    .uniform_work_group_size: 1
    .uses_dynamic_stack: false
    .vgpr_count:     6
    .vgpr_spill_count: 0
    .wavefront_size: 64
  - .agpr_count:     0
    .args:
      - .address_space:  global
        .offset:         0
        .size:           8
        .value_kind:     global_buffer
      - .address_space:  global
        .offset:         8
        .size:           8
        .value_kind:     global_buffer
      - .offset:         16
        .size:           4
        .value_kind:     by_value
      - .offset:         24
        .size:           4
        .value_kind:     hidden_block_count_x
      - .offset:         28
        .size:           4
        .value_kind:     hidden_block_count_y
      - .offset:         32
        .size:           4
        .value_kind:     hidden_block_count_z
      - .offset:         36
        .size:           2
        .value_kind:     hidden_group_size_x
      - .offset:         38
        .size:           2
        .value_kind:     hidden_group_size_y
      - .offset:         40
        .size:           2
        .value_kind:     hidden_group_size_z
      - .offset:         42
        .size:           2
        .value_kind:     hidden_remainder_x
      - .offset:         44
        .size:           2
        .value_kind:     hidden_remainder_y
      - .offset:         46
        .size:           2
        .value_kind:     hidden_remainder_z
      - .offset:         64
        .size:           8
        .value_kind:     hidden_global_offset_x
      - .offset:         72
        .size:           8
        .value_kind:     hidden_global_offset_y
      - .offset:         80
        .size:           8
        .value_kind:     hidden_global_offset_z
      - .offset:         88
        .size:           2
        .value_kind:     hidden_grid_dims
    .group_segment_fixed_size: 0
    .kernarg_segment_align: 8
    .kernarg_segment_size: 280
    .language:       OpenCL C
    .language_version:
      - 2
      - 0
    .max_flat_workgroup_size: 32
    .name:           _Z24warp_reduce_valid_kernelIfLj32ELj1EENSt9enable_ifIXsr10test_utilsE35device_test_enabled_for_warp_size_vIXT1_EEEvE4typeEPT_S4_i
    .private_segment_fixed_size: 0
    .sgpr_count:     12
    .sgpr_spill_count: 0
    .symbol:         _Z24warp_reduce_valid_kernelIfLj32ELj1EENSt9enable_ifIXsr10test_utilsE35device_test_enabled_for_warp_size_vIXT1_EEEvE4typeEPT_S4_i.kd
    .uniform_work_group_size: 1
    .uses_dynamic_stack: false
    .vgpr_count:     4
    .vgpr_spill_count: 0
    .wavefront_size: 64
  - .agpr_count:     0
    .args:
      - .address_space:  global
        .offset:         0
        .size:           8
        .value_kind:     global_buffer
      - .address_space:  global
        .offset:         8
        .size:           8
        .value_kind:     global_buffer
      - .offset:         16
        .size:           4
        .value_kind:     by_value
      - .offset:         24
        .size:           4
        .value_kind:     hidden_block_count_x
      - .offset:         28
        .size:           4
        .value_kind:     hidden_block_count_y
      - .offset:         32
        .size:           4
        .value_kind:     hidden_block_count_z
      - .offset:         36
        .size:           2
        .value_kind:     hidden_group_size_x
      - .offset:         38
        .size:           2
        .value_kind:     hidden_group_size_y
      - .offset:         40
        .size:           2
        .value_kind:     hidden_group_size_z
      - .offset:         42
        .size:           2
        .value_kind:     hidden_remainder_x
      - .offset:         44
        .size:           2
        .value_kind:     hidden_remainder_y
      - .offset:         46
        .size:           2
        .value_kind:     hidden_remainder_z
      - .offset:         64
        .size:           8
        .value_kind:     hidden_global_offset_x
      - .offset:         72
        .size:           8
        .value_kind:     hidden_global_offset_y
      - .offset:         80
        .size:           8
        .value_kind:     hidden_global_offset_z
      - .offset:         88
        .size:           2
        .value_kind:     hidden_grid_dims
    .group_segment_fixed_size: 0
    .kernarg_segment_align: 8
    .kernarg_segment_size: 280
    .language:       OpenCL C
    .language_version:
      - 2
      - 0
    .max_flat_workgroup_size: 64
    .name:           _Z24warp_reduce_valid_kernelIfLj64ELj1EENSt9enable_ifIXsr10test_utilsE35device_test_enabled_for_warp_size_vIXT1_EEEvE4typeEPT_S4_i
    .private_segment_fixed_size: 0
    .sgpr_count:     12
    .sgpr_spill_count: 0
    .symbol:         _Z24warp_reduce_valid_kernelIfLj64ELj1EENSt9enable_ifIXsr10test_utilsE35device_test_enabled_for_warp_size_vIXT1_EEEvE4typeEPT_S4_i.kd
    .uniform_work_group_size: 1
    .uses_dynamic_stack: false
    .vgpr_count:     4
    .vgpr_spill_count: 0
    .wavefront_size: 64
  - .agpr_count:     0
    .args:
      - .address_space:  global
        .offset:         0
        .size:           8
        .value_kind:     global_buffer
      - .address_space:  global
        .offset:         8
        .size:           8
        .value_kind:     global_buffer
      - .offset:         16
        .size:           4
        .value_kind:     by_value
      - .offset:         24
        .size:           4
        .value_kind:     hidden_block_count_x
      - .offset:         28
        .size:           4
        .value_kind:     hidden_block_count_y
      - .offset:         32
        .size:           4
        .value_kind:     hidden_block_count_z
      - .offset:         36
        .size:           2
        .value_kind:     hidden_group_size_x
      - .offset:         38
        .size:           2
        .value_kind:     hidden_group_size_y
      - .offset:         40
        .size:           2
        .value_kind:     hidden_group_size_z
      - .offset:         42
        .size:           2
        .value_kind:     hidden_remainder_x
      - .offset:         44
        .size:           2
        .value_kind:     hidden_remainder_y
      - .offset:         46
        .size:           2
        .value_kind:     hidden_remainder_z
      - .offset:         64
        .size:           8
        .value_kind:     hidden_global_offset_x
      - .offset:         72
        .size:           8
        .value_kind:     hidden_global_offset_y
      - .offset:         80
        .size:           8
        .value_kind:     hidden_global_offset_z
      - .offset:         88
        .size:           2
        .value_kind:     hidden_grid_dims
    .group_segment_fixed_size: 0
    .kernarg_segment_align: 8
    .kernarg_segment_size: 280
    .language:       OpenCL C
    .language_version:
      - 2
      - 0
    .max_flat_workgroup_size: 256
    .name:           _Z24warp_reduce_valid_kernelIiLj256ELj64EENSt9enable_ifIXsr10test_utilsE35device_test_enabled_for_warp_size_vIXT1_EEEvE4typeEPT_S4_i
    .private_segment_fixed_size: 0
    .sgpr_count:     13
    .sgpr_spill_count: 0
    .symbol:         _Z24warp_reduce_valid_kernelIiLj256ELj64EENSt9enable_ifIXsr10test_utilsE35device_test_enabled_for_warp_size_vIXT1_EEEvE4typeEPT_S4_i.kd
    .uniform_work_group_size: 1
    .uses_dynamic_stack: false
    .vgpr_count:     12
    .vgpr_spill_count: 0
    .wavefront_size: 64
  - .agpr_count:     0
    .args:
      - .address_space:  global
        .offset:         0
        .size:           8
        .value_kind:     global_buffer
      - .address_space:  global
        .offset:         8
        .size:           8
        .value_kind:     global_buffer
      - .offset:         16
        .size:           4
        .value_kind:     by_value
      - .offset:         24
        .size:           4
        .value_kind:     hidden_block_count_x
      - .offset:         28
        .size:           4
        .value_kind:     hidden_block_count_y
      - .offset:         32
        .size:           4
        .value_kind:     hidden_block_count_z
      - .offset:         36
        .size:           2
        .value_kind:     hidden_group_size_x
      - .offset:         38
        .size:           2
        .value_kind:     hidden_group_size_y
      - .offset:         40
        .size:           2
        .value_kind:     hidden_group_size_z
      - .offset:         42
        .size:           2
        .value_kind:     hidden_remainder_x
      - .offset:         44
        .size:           2
        .value_kind:     hidden_remainder_y
      - .offset:         46
        .size:           2
        .value_kind:     hidden_remainder_z
      - .offset:         64
        .size:           8
        .value_kind:     hidden_global_offset_x
      - .offset:         72
        .size:           8
        .value_kind:     hidden_global_offset_y
      - .offset:         80
        .size:           8
        .value_kind:     hidden_global_offset_z
      - .offset:         88
        .size:           2
        .value_kind:     hidden_grid_dims
    .group_segment_fixed_size: 0
    .kernarg_segment_align: 8
    .kernarg_segment_size: 280
    .language:       OpenCL C
    .language_version:
      - 2
      - 0
    .max_flat_workgroup_size: 128
    .name:           _Z24warp_reduce_valid_kernelIiLj128ELj32EENSt9enable_ifIXsr10test_utilsE35device_test_enabled_for_warp_size_vIXT1_EEEvE4typeEPT_S4_i
    .private_segment_fixed_size: 0
    .sgpr_count:     13
    .sgpr_spill_count: 0
    .symbol:         _Z24warp_reduce_valid_kernelIiLj128ELj32EENSt9enable_ifIXsr10test_utilsE35device_test_enabled_for_warp_size_vIXT1_EEEvE4typeEPT_S4_i.kd
    .uniform_work_group_size: 1
    .uses_dynamic_stack: false
    .vgpr_count:     11
    .vgpr_spill_count: 0
    .wavefront_size: 64
  - .agpr_count:     0
    .args:
      - .address_space:  global
        .offset:         0
        .size:           8
        .value_kind:     global_buffer
      - .address_space:  global
        .offset:         8
        .size:           8
        .value_kind:     global_buffer
      - .offset:         16
        .size:           4
        .value_kind:     by_value
      - .offset:         24
        .size:           4
        .value_kind:     hidden_block_count_x
      - .offset:         28
        .size:           4
        .value_kind:     hidden_block_count_y
      - .offset:         32
        .size:           4
        .value_kind:     hidden_block_count_z
      - .offset:         36
        .size:           2
        .value_kind:     hidden_group_size_x
      - .offset:         38
        .size:           2
        .value_kind:     hidden_group_size_y
      - .offset:         40
        .size:           2
        .value_kind:     hidden_group_size_z
      - .offset:         42
        .size:           2
        .value_kind:     hidden_remainder_x
      - .offset:         44
        .size:           2
        .value_kind:     hidden_remainder_y
      - .offset:         46
        .size:           2
        .value_kind:     hidden_remainder_z
      - .offset:         64
        .size:           8
        .value_kind:     hidden_global_offset_x
      - .offset:         72
        .size:           8
        .value_kind:     hidden_global_offset_y
      - .offset:         80
        .size:           8
        .value_kind:     hidden_global_offset_z
      - .offset:         88
        .size:           2
        .value_kind:     hidden_grid_dims
    .group_segment_fixed_size: 0
    .kernarg_segment_align: 8
    .kernarg_segment_size: 280
    .language:       OpenCL C
    .language_version:
      - 2
      - 0
    .max_flat_workgroup_size: 64
    .name:           _Z24warp_reduce_valid_kernelIiLj64ELj16EENSt9enable_ifIXsr10test_utilsE35device_test_enabled_for_warp_size_vIXT1_EEEvE4typeEPT_S4_i
    .private_segment_fixed_size: 0
    .sgpr_count:     13
    .sgpr_spill_count: 0
    .symbol:         _Z24warp_reduce_valid_kernelIiLj64ELj16EENSt9enable_ifIXsr10test_utilsE35device_test_enabled_for_warp_size_vIXT1_EEEvE4typeEPT_S4_i.kd
    .uniform_work_group_size: 1
    .uses_dynamic_stack: false
    .vgpr_count:     10
    .vgpr_spill_count: 0
    .wavefront_size: 64
  - .agpr_count:     0
    .args:
      - .address_space:  global
        .offset:         0
        .size:           8
        .value_kind:     global_buffer
      - .address_space:  global
        .offset:         8
        .size:           8
        .value_kind:     global_buffer
      - .offset:         16
        .size:           4
        .value_kind:     by_value
      - .offset:         24
        .size:           4
        .value_kind:     hidden_block_count_x
      - .offset:         28
        .size:           4
        .value_kind:     hidden_block_count_y
      - .offset:         32
        .size:           4
        .value_kind:     hidden_block_count_z
      - .offset:         36
        .size:           2
        .value_kind:     hidden_group_size_x
      - .offset:         38
        .size:           2
        .value_kind:     hidden_group_size_y
      - .offset:         40
        .size:           2
        .value_kind:     hidden_group_size_z
      - .offset:         42
        .size:           2
        .value_kind:     hidden_remainder_x
      - .offset:         44
        .size:           2
        .value_kind:     hidden_remainder_y
      - .offset:         46
        .size:           2
        .value_kind:     hidden_remainder_z
      - .offset:         64
        .size:           8
        .value_kind:     hidden_global_offset_x
      - .offset:         72
        .size:           8
        .value_kind:     hidden_global_offset_y
      - .offset:         80
        .size:           8
        .value_kind:     hidden_global_offset_z
      - .offset:         88
        .size:           2
        .value_kind:     hidden_grid_dims
    .group_segment_fixed_size: 0
    .kernarg_segment_align: 8
    .kernarg_segment_size: 280
    .language:       OpenCL C
    .language_version:
      - 2
      - 0
    .max_flat_workgroup_size: 32
    .name:           _Z24warp_reduce_valid_kernelIiLj32ELj8EENSt9enable_ifIXsr10test_utilsE35device_test_enabled_for_warp_size_vIXT1_EEEvE4typeEPT_S4_i
    .private_segment_fixed_size: 0
    .sgpr_count:     13
    .sgpr_spill_count: 0
    .symbol:         _Z24warp_reduce_valid_kernelIiLj32ELj8EENSt9enable_ifIXsr10test_utilsE35device_test_enabled_for_warp_size_vIXT1_EEEvE4typeEPT_S4_i.kd
    .uniform_work_group_size: 1
    .uses_dynamic_stack: false
    .vgpr_count:     9
    .vgpr_spill_count: 0
    .wavefront_size: 64
  - .agpr_count:     0
    .args:
      - .address_space:  global
        .offset:         0
        .size:           8
        .value_kind:     global_buffer
      - .address_space:  global
        .offset:         8
        .size:           8
        .value_kind:     global_buffer
      - .offset:         16
        .size:           4
        .value_kind:     by_value
      - .offset:         24
        .size:           4
        .value_kind:     hidden_block_count_x
      - .offset:         28
        .size:           4
        .value_kind:     hidden_block_count_y
      - .offset:         32
        .size:           4
        .value_kind:     hidden_block_count_z
      - .offset:         36
        .size:           2
        .value_kind:     hidden_group_size_x
      - .offset:         38
        .size:           2
        .value_kind:     hidden_group_size_y
      - .offset:         40
        .size:           2
        .value_kind:     hidden_group_size_z
      - .offset:         42
        .size:           2
        .value_kind:     hidden_remainder_x
      - .offset:         44
        .size:           2
        .value_kind:     hidden_remainder_y
      - .offset:         46
        .size:           2
        .value_kind:     hidden_remainder_z
      - .offset:         64
        .size:           8
        .value_kind:     hidden_global_offset_x
      - .offset:         72
        .size:           8
        .value_kind:     hidden_global_offset_y
      - .offset:         80
        .size:           8
        .value_kind:     hidden_global_offset_z
      - .offset:         88
        .size:           2
        .value_kind:     hidden_grid_dims
    .group_segment_fixed_size: 0
    .kernarg_segment_align: 8
    .kernarg_segment_size: 280
    .language:       OpenCL C
    .language_version:
      - 2
      - 0
    .max_flat_workgroup_size: 64
    .name:           _Z24warp_reduce_valid_kernelIiLj64ELj8EENSt9enable_ifIXsr10test_utilsE35device_test_enabled_for_warp_size_vIXT1_EEEvE4typeEPT_S4_i
    .private_segment_fixed_size: 0
    .sgpr_count:     13
    .sgpr_spill_count: 0
    .symbol:         _Z24warp_reduce_valid_kernelIiLj64ELj8EENSt9enable_ifIXsr10test_utilsE35device_test_enabled_for_warp_size_vIXT1_EEEvE4typeEPT_S4_i.kd
    .uniform_work_group_size: 1
    .uses_dynamic_stack: false
    .vgpr_count:     9
    .vgpr_spill_count: 0
    .wavefront_size: 64
  - .agpr_count:     0
    .args:
      - .address_space:  global
        .offset:         0
        .size:           8
        .value_kind:     global_buffer
      - .address_space:  global
        .offset:         8
        .size:           8
        .value_kind:     global_buffer
      - .offset:         16
        .size:           4
        .value_kind:     by_value
      - .offset:         24
        .size:           4
        .value_kind:     hidden_block_count_x
      - .offset:         28
        .size:           4
        .value_kind:     hidden_block_count_y
      - .offset:         32
        .size:           4
        .value_kind:     hidden_block_count_z
      - .offset:         36
        .size:           2
        .value_kind:     hidden_group_size_x
      - .offset:         38
        .size:           2
        .value_kind:     hidden_group_size_y
      - .offset:         40
        .size:           2
        .value_kind:     hidden_group_size_z
      - .offset:         42
        .size:           2
        .value_kind:     hidden_remainder_x
      - .offset:         44
        .size:           2
        .value_kind:     hidden_remainder_y
      - .offset:         46
        .size:           2
        .value_kind:     hidden_remainder_z
      - .offset:         64
        .size:           8
        .value_kind:     hidden_global_offset_x
      - .offset:         72
        .size:           8
        .value_kind:     hidden_global_offset_y
      - .offset:         80
        .size:           8
        .value_kind:     hidden_global_offset_z
      - .offset:         88
        .size:           2
        .value_kind:     hidden_grid_dims
    .group_segment_fixed_size: 0
    .kernarg_segment_align: 8
    .kernarg_segment_size: 280
    .language:       OpenCL C
    .language_version:
      - 2
      - 0
    .max_flat_workgroup_size: 32
    .name:           _Z24warp_reduce_valid_kernelIiLj32ELj4EENSt9enable_ifIXsr10test_utilsE35device_test_enabled_for_warp_size_vIXT1_EEEvE4typeEPT_S4_i
    .private_segment_fixed_size: 0
    .sgpr_count:     13
    .sgpr_spill_count: 0
    .symbol:         _Z24warp_reduce_valid_kernelIiLj32ELj4EENSt9enable_ifIXsr10test_utilsE35device_test_enabled_for_warp_size_vIXT1_EEEvE4typeEPT_S4_i.kd
    .uniform_work_group_size: 1
    .uses_dynamic_stack: false
    .vgpr_count:     8
    .vgpr_spill_count: 0
    .wavefront_size: 64
  - .agpr_count:     0
    .args:
      - .address_space:  global
        .offset:         0
        .size:           8
        .value_kind:     global_buffer
      - .address_space:  global
        .offset:         8
        .size:           8
        .value_kind:     global_buffer
      - .offset:         16
        .size:           4
        .value_kind:     by_value
      - .offset:         24
        .size:           4
        .value_kind:     hidden_block_count_x
      - .offset:         28
        .size:           4
        .value_kind:     hidden_block_count_y
      - .offset:         32
        .size:           4
        .value_kind:     hidden_block_count_z
      - .offset:         36
        .size:           2
        .value_kind:     hidden_group_size_x
      - .offset:         38
        .size:           2
        .value_kind:     hidden_group_size_y
      - .offset:         40
        .size:           2
        .value_kind:     hidden_group_size_z
      - .offset:         42
        .size:           2
        .value_kind:     hidden_remainder_x
      - .offset:         44
        .size:           2
        .value_kind:     hidden_remainder_y
      - .offset:         46
        .size:           2
        .value_kind:     hidden_remainder_z
      - .offset:         64
        .size:           8
        .value_kind:     hidden_global_offset_x
      - .offset:         72
        .size:           8
        .value_kind:     hidden_global_offset_y
      - .offset:         80
        .size:           8
        .value_kind:     hidden_global_offset_z
      - .offset:         88
        .size:           2
        .value_kind:     hidden_grid_dims
    .group_segment_fixed_size: 0
    .kernarg_segment_align: 8
    .kernarg_segment_size: 280
    .language:       OpenCL C
    .language_version:
      - 2
      - 0
    .max_flat_workgroup_size: 64
    .name:           _Z24warp_reduce_valid_kernelIiLj64ELj4EENSt9enable_ifIXsr10test_utilsE35device_test_enabled_for_warp_size_vIXT1_EEEvE4typeEPT_S4_i
    .private_segment_fixed_size: 0
    .sgpr_count:     13
    .sgpr_spill_count: 0
    .symbol:         _Z24warp_reduce_valid_kernelIiLj64ELj4EENSt9enable_ifIXsr10test_utilsE35device_test_enabled_for_warp_size_vIXT1_EEEvE4typeEPT_S4_i.kd
    .uniform_work_group_size: 1
    .uses_dynamic_stack: false
    .vgpr_count:     8
    .vgpr_spill_count: 0
    .wavefront_size: 64
  - .agpr_count:     0
    .args:
      - .address_space:  global
        .offset:         0
        .size:           8
        .value_kind:     global_buffer
      - .address_space:  global
        .offset:         8
        .size:           8
        .value_kind:     global_buffer
      - .offset:         16
        .size:           4
        .value_kind:     by_value
      - .offset:         24
        .size:           4
        .value_kind:     hidden_block_count_x
      - .offset:         28
        .size:           4
        .value_kind:     hidden_block_count_y
      - .offset:         32
        .size:           4
        .value_kind:     hidden_block_count_z
      - .offset:         36
        .size:           2
        .value_kind:     hidden_group_size_x
      - .offset:         38
        .size:           2
        .value_kind:     hidden_group_size_y
      - .offset:         40
        .size:           2
        .value_kind:     hidden_group_size_z
      - .offset:         42
        .size:           2
        .value_kind:     hidden_remainder_x
      - .offset:         44
        .size:           2
        .value_kind:     hidden_remainder_y
      - .offset:         46
        .size:           2
        .value_kind:     hidden_remainder_z
      - .offset:         64
        .size:           8
        .value_kind:     hidden_global_offset_x
      - .offset:         72
        .size:           8
        .value_kind:     hidden_global_offset_y
      - .offset:         80
        .size:           8
        .value_kind:     hidden_global_offset_z
      - .offset:         88
        .size:           2
        .value_kind:     hidden_grid_dims
    .group_segment_fixed_size: 0
    .kernarg_segment_align: 8
    .kernarg_segment_size: 280
    .language:       OpenCL C
    .language_version:
      - 2
      - 0
    .max_flat_workgroup_size: 32
    .name:           _Z24warp_reduce_valid_kernelIiLj32ELj2EENSt9enable_ifIXsr10test_utilsE35device_test_enabled_for_warp_size_vIXT1_EEEvE4typeEPT_S4_i
    .private_segment_fixed_size: 0
    .sgpr_count:     12
    .sgpr_spill_count: 0
    .symbol:         _Z24warp_reduce_valid_kernelIiLj32ELj2EENSt9enable_ifIXsr10test_utilsE35device_test_enabled_for_warp_size_vIXT1_EEEvE4typeEPT_S4_i.kd
    .uniform_work_group_size: 1
    .uses_dynamic_stack: false
    .vgpr_count:     6
    .vgpr_spill_count: 0
    .wavefront_size: 64
  - .agpr_count:     0
    .args:
      - .address_space:  global
        .offset:         0
        .size:           8
        .value_kind:     global_buffer
      - .address_space:  global
        .offset:         8
        .size:           8
        .value_kind:     global_buffer
      - .offset:         16
        .size:           4
        .value_kind:     by_value
      - .offset:         24
        .size:           4
        .value_kind:     hidden_block_count_x
      - .offset:         28
        .size:           4
        .value_kind:     hidden_block_count_y
      - .offset:         32
        .size:           4
        .value_kind:     hidden_block_count_z
      - .offset:         36
        .size:           2
        .value_kind:     hidden_group_size_x
      - .offset:         38
        .size:           2
        .value_kind:     hidden_group_size_y
      - .offset:         40
        .size:           2
        .value_kind:     hidden_group_size_z
      - .offset:         42
        .size:           2
        .value_kind:     hidden_remainder_x
      - .offset:         44
        .size:           2
        .value_kind:     hidden_remainder_y
      - .offset:         46
        .size:           2
        .value_kind:     hidden_remainder_z
      - .offset:         64
        .size:           8
        .value_kind:     hidden_global_offset_x
      - .offset:         72
        .size:           8
        .value_kind:     hidden_global_offset_y
      - .offset:         80
        .size:           8
        .value_kind:     hidden_global_offset_z
      - .offset:         88
        .size:           2
        .value_kind:     hidden_grid_dims
    .group_segment_fixed_size: 0
    .kernarg_segment_align: 8
    .kernarg_segment_size: 280
    .language:       OpenCL C
    .language_version:
      - 2
      - 0
    .max_flat_workgroup_size: 64
    .name:           _Z24warp_reduce_valid_kernelIiLj64ELj2EENSt9enable_ifIXsr10test_utilsE35device_test_enabled_for_warp_size_vIXT1_EEEvE4typeEPT_S4_i
    .private_segment_fixed_size: 0
    .sgpr_count:     12
    .sgpr_spill_count: 0
    .symbol:         _Z24warp_reduce_valid_kernelIiLj64ELj2EENSt9enable_ifIXsr10test_utilsE35device_test_enabled_for_warp_size_vIXT1_EEEvE4typeEPT_S4_i.kd
    .uniform_work_group_size: 1
    .uses_dynamic_stack: false
    .vgpr_count:     6
    .vgpr_spill_count: 0
    .wavefront_size: 64
  - .agpr_count:     0
    .args:
      - .address_space:  global
        .offset:         0
        .size:           8
        .value_kind:     global_buffer
      - .address_space:  global
        .offset:         8
        .size:           8
        .value_kind:     global_buffer
      - .offset:         16
        .size:           4
        .value_kind:     by_value
      - .offset:         24
        .size:           4
        .value_kind:     hidden_block_count_x
      - .offset:         28
        .size:           4
        .value_kind:     hidden_block_count_y
      - .offset:         32
        .size:           4
        .value_kind:     hidden_block_count_z
      - .offset:         36
        .size:           2
        .value_kind:     hidden_group_size_x
      - .offset:         38
        .size:           2
        .value_kind:     hidden_group_size_y
      - .offset:         40
        .size:           2
        .value_kind:     hidden_group_size_z
      - .offset:         42
        .size:           2
        .value_kind:     hidden_remainder_x
      - .offset:         44
        .size:           2
        .value_kind:     hidden_remainder_y
      - .offset:         46
        .size:           2
        .value_kind:     hidden_remainder_z
      - .offset:         64
        .size:           8
        .value_kind:     hidden_global_offset_x
      - .offset:         72
        .size:           8
        .value_kind:     hidden_global_offset_y
      - .offset:         80
        .size:           8
        .value_kind:     hidden_global_offset_z
      - .offset:         88
        .size:           2
        .value_kind:     hidden_grid_dims
    .group_segment_fixed_size: 0
    .kernarg_segment_align: 8
    .kernarg_segment_size: 280
    .language:       OpenCL C
    .language_version:
      - 2
      - 0
    .max_flat_workgroup_size: 32
    .name:           _Z24warp_reduce_valid_kernelIiLj32ELj1EENSt9enable_ifIXsr10test_utilsE35device_test_enabled_for_warp_size_vIXT1_EEEvE4typeEPT_S4_i
    .private_segment_fixed_size: 0
    .sgpr_count:     12
    .sgpr_spill_count: 0
    .symbol:         _Z24warp_reduce_valid_kernelIiLj32ELj1EENSt9enable_ifIXsr10test_utilsE35device_test_enabled_for_warp_size_vIXT1_EEEvE4typeEPT_S4_i.kd
    .uniform_work_group_size: 1
    .uses_dynamic_stack: false
    .vgpr_count:     4
    .vgpr_spill_count: 0
    .wavefront_size: 64
  - .agpr_count:     0
    .args:
      - .address_space:  global
        .offset:         0
        .size:           8
        .value_kind:     global_buffer
      - .address_space:  global
        .offset:         8
        .size:           8
        .value_kind:     global_buffer
      - .offset:         16
        .size:           4
        .value_kind:     by_value
      - .offset:         24
        .size:           4
        .value_kind:     hidden_block_count_x
      - .offset:         28
        .size:           4
        .value_kind:     hidden_block_count_y
      - .offset:         32
        .size:           4
        .value_kind:     hidden_block_count_z
      - .offset:         36
        .size:           2
        .value_kind:     hidden_group_size_x
      - .offset:         38
        .size:           2
        .value_kind:     hidden_group_size_y
      - .offset:         40
        .size:           2
        .value_kind:     hidden_group_size_z
      - .offset:         42
        .size:           2
        .value_kind:     hidden_remainder_x
      - .offset:         44
        .size:           2
        .value_kind:     hidden_remainder_y
      - .offset:         46
        .size:           2
        .value_kind:     hidden_remainder_z
      - .offset:         64
        .size:           8
        .value_kind:     hidden_global_offset_x
      - .offset:         72
        .size:           8
        .value_kind:     hidden_global_offset_y
      - .offset:         80
        .size:           8
        .value_kind:     hidden_global_offset_z
      - .offset:         88
        .size:           2
        .value_kind:     hidden_grid_dims
    .group_segment_fixed_size: 0
    .kernarg_segment_align: 8
    .kernarg_segment_size: 280
    .language:       OpenCL C
    .language_version:
      - 2
      - 0
    .max_flat_workgroup_size: 64
    .name:           _Z24warp_reduce_valid_kernelIiLj64ELj1EENSt9enable_ifIXsr10test_utilsE35device_test_enabled_for_warp_size_vIXT1_EEEvE4typeEPT_S4_i
    .private_segment_fixed_size: 0
    .sgpr_count:     12
    .sgpr_spill_count: 0
    .symbol:         _Z24warp_reduce_valid_kernelIiLj64ELj1EENSt9enable_ifIXsr10test_utilsE35device_test_enabled_for_warp_size_vIXT1_EEEvE4typeEPT_S4_i.kd
    .uniform_work_group_size: 1
    .uses_dynamic_stack: false
    .vgpr_count:     4
    .vgpr_spill_count: 0
    .wavefront_size: 64
  - .agpr_count:     0
    .args:
      - .address_space:  global
        .offset:         0
        .size:           8
        .value_kind:     global_buffer
      - .address_space:  global
        .offset:         8
        .size:           8
        .value_kind:     global_buffer
      - .address_space:  global
        .offset:         16
        .size:           8
        .value_kind:     global_buffer
      - .offset:         24
        .size:           4
        .value_kind:     hidden_block_count_x
      - .offset:         28
        .size:           4
        .value_kind:     hidden_block_count_y
      - .offset:         32
        .size:           4
        .value_kind:     hidden_block_count_z
      - .offset:         36
        .size:           2
        .value_kind:     hidden_group_size_x
      - .offset:         38
        .size:           2
        .value_kind:     hidden_group_size_y
      - .offset:         40
        .size:           2
        .value_kind:     hidden_group_size_z
      - .offset:         42
        .size:           2
        .value_kind:     hidden_remainder_x
      - .offset:         44
        .size:           2
        .value_kind:     hidden_remainder_y
      - .offset:         46
        .size:           2
        .value_kind:     hidden_remainder_z
      - .offset:         64
        .size:           8
        .value_kind:     hidden_global_offset_x
      - .offset:         72
        .size:           8
        .value_kind:     hidden_global_offset_y
      - .offset:         80
        .size:           8
        .value_kind:     hidden_global_offset_z
      - .offset:         88
        .size:           2
        .value_kind:     hidden_grid_dims
    .group_segment_fixed_size: 244
    .kernarg_segment_align: 8
    .kernarg_segment_size: 280
    .language:       OpenCL C
    .language_version:
      - 2
      - 0
    .max_flat_workgroup_size: 1
    .name:           _Z33head_segmented_warp_reduce_kernelIfhLj1ELj61EENSt9enable_ifIXsr10test_utilsE35device_test_enabled_for_warp_size_vIXT2_EEEvE4typeEPT_PT0_S4_
    .private_segment_fixed_size: 0
    .sgpr_count:     16
    .sgpr_spill_count: 0
    .symbol:         _Z33head_segmented_warp_reduce_kernelIfhLj1ELj61EENSt9enable_ifIXsr10test_utilsE35device_test_enabled_for_warp_size_vIXT2_EEEvE4typeEPT_PT0_S4_.kd
    .uniform_work_group_size: 1
    .uses_dynamic_stack: false
    .vgpr_count:     7
    .vgpr_spill_count: 0
    .wavefront_size: 64
  - .agpr_count:     0
    .args:
      - .address_space:  global
        .offset:         0
        .size:           8
        .value_kind:     global_buffer
      - .address_space:  global
        .offset:         8
        .size:           8
        .value_kind:     global_buffer
      - .address_space:  global
        .offset:         16
        .size:           8
        .value_kind:     global_buffer
      - .offset:         24
        .size:           4
        .value_kind:     hidden_block_count_x
      - .offset:         28
        .size:           4
        .value_kind:     hidden_block_count_y
      - .offset:         32
        .size:           4
        .value_kind:     hidden_block_count_z
      - .offset:         36
        .size:           2
        .value_kind:     hidden_group_size_x
      - .offset:         38
        .size:           2
        .value_kind:     hidden_group_size_y
      - .offset:         40
        .size:           2
        .value_kind:     hidden_group_size_z
      - .offset:         42
        .size:           2
        .value_kind:     hidden_remainder_x
      - .offset:         44
        .size:           2
        .value_kind:     hidden_remainder_y
      - .offset:         46
        .size:           2
        .value_kind:     hidden_remainder_z
      - .offset:         64
        .size:           8
        .value_kind:     hidden_global_offset_x
      - .offset:         72
        .size:           8
        .value_kind:     hidden_global_offset_y
      - .offset:         80
        .size:           8
        .value_kind:     hidden_global_offset_z
      - .offset:         88
        .size:           2
        .value_kind:     hidden_grid_dims
    .group_segment_fixed_size: 244
    .kernarg_segment_align: 8
    .kernarg_segment_size: 280
    .language:       OpenCL C
    .language_version:
      - 2
      - 0
    .max_flat_workgroup_size: 61
    .name:           _Z33head_segmented_warp_reduce_kernelIfhLj61ELj61EENSt9enable_ifIXsr10test_utilsE35device_test_enabled_for_warp_size_vIXT2_EEEvE4typeEPT_PT0_S4_
    .private_segment_fixed_size: 0
    .sgpr_count:     12
    .sgpr_spill_count: 0
    .symbol:         _Z33head_segmented_warp_reduce_kernelIfhLj61ELj61EENSt9enable_ifIXsr10test_utilsE35device_test_enabled_for_warp_size_vIXT2_EEEvE4typeEPT_PT0_S4_.kd
    .uniform_work_group_size: 1
    .uses_dynamic_stack: false
    .vgpr_count:     10
    .vgpr_spill_count: 0
    .wavefront_size: 64
  - .agpr_count:     0
    .args:
      - .address_space:  global
        .offset:         0
        .size:           8
        .value_kind:     global_buffer
      - .address_space:  global
        .offset:         8
        .size:           8
        .value_kind:     global_buffer
      - .address_space:  global
        .offset:         16
        .size:           8
        .value_kind:     global_buffer
      - .offset:         24
        .size:           4
        .value_kind:     hidden_block_count_x
      - .offset:         28
        .size:           4
        .value_kind:     hidden_block_count_y
      - .offset:         32
        .size:           4
        .value_kind:     hidden_block_count_z
      - .offset:         36
        .size:           2
        .value_kind:     hidden_group_size_x
      - .offset:         38
        .size:           2
        .value_kind:     hidden_group_size_y
      - .offset:         40
        .size:           2
        .value_kind:     hidden_group_size_z
      - .offset:         42
        .size:           2
        .value_kind:     hidden_remainder_x
      - .offset:         44
        .size:           2
        .value_kind:     hidden_remainder_y
      - .offset:         46
        .size:           2
        .value_kind:     hidden_remainder_z
      - .offset:         64
        .size:           8
        .value_kind:     hidden_global_offset_x
      - .offset:         72
        .size:           8
        .value_kind:     hidden_global_offset_y
      - .offset:         80
        .size:           8
        .value_kind:     hidden_global_offset_z
      - .offset:         88
        .size:           2
        .value_kind:     hidden_grid_dims
    .group_segment_fixed_size: 148
    .kernarg_segment_align: 8
    .kernarg_segment_size: 280
    .language:       OpenCL C
    .language_version:
      - 2
      - 0
    .max_flat_workgroup_size: 1
    .name:           _Z33head_segmented_warp_reduce_kernelIfhLj1ELj37EENSt9enable_ifIXsr10test_utilsE35device_test_enabled_for_warp_size_vIXT2_EEEvE4typeEPT_PT0_S4_
    .private_segment_fixed_size: 0
    .sgpr_count:     16
    .sgpr_spill_count: 0
    .symbol:         _Z33head_segmented_warp_reduce_kernelIfhLj1ELj37EENSt9enable_ifIXsr10test_utilsE35device_test_enabled_for_warp_size_vIXT2_EEEvE4typeEPT_PT0_S4_.kd
    .uniform_work_group_size: 1
    .uses_dynamic_stack: false
    .vgpr_count:     7
    .vgpr_spill_count: 0
    .wavefront_size: 64
  - .agpr_count:     0
    .args:
      - .address_space:  global
        .offset:         0
        .size:           8
        .value_kind:     global_buffer
      - .address_space:  global
        .offset:         8
        .size:           8
        .value_kind:     global_buffer
      - .address_space:  global
        .offset:         16
        .size:           8
        .value_kind:     global_buffer
      - .offset:         24
        .size:           4
        .value_kind:     hidden_block_count_x
      - .offset:         28
        .size:           4
        .value_kind:     hidden_block_count_y
      - .offset:         32
        .size:           4
        .value_kind:     hidden_block_count_z
      - .offset:         36
        .size:           2
        .value_kind:     hidden_group_size_x
      - .offset:         38
        .size:           2
        .value_kind:     hidden_group_size_y
      - .offset:         40
        .size:           2
        .value_kind:     hidden_group_size_z
      - .offset:         42
        .size:           2
        .value_kind:     hidden_remainder_x
      - .offset:         44
        .size:           2
        .value_kind:     hidden_remainder_y
      - .offset:         46
        .size:           2
        .value_kind:     hidden_remainder_z
      - .offset:         64
        .size:           8
        .value_kind:     hidden_global_offset_x
      - .offset:         72
        .size:           8
        .value_kind:     hidden_global_offset_y
      - .offset:         80
        .size:           8
        .value_kind:     hidden_global_offset_z
      - .offset:         88
        .size:           2
        .value_kind:     hidden_grid_dims
    .group_segment_fixed_size: 148
    .kernarg_segment_align: 8
    .kernarg_segment_size: 280
    .language:       OpenCL C
    .language_version:
      - 2
      - 0
    .max_flat_workgroup_size: 37
    .name:           _Z33head_segmented_warp_reduce_kernelIfhLj37ELj37EENSt9enable_ifIXsr10test_utilsE35device_test_enabled_for_warp_size_vIXT2_EEEvE4typeEPT_PT0_S4_
    .private_segment_fixed_size: 0
    .sgpr_count:     12
    .sgpr_spill_count: 0
    .symbol:         _Z33head_segmented_warp_reduce_kernelIfhLj37ELj37EENSt9enable_ifIXsr10test_utilsE35device_test_enabled_for_warp_size_vIXT2_EEEvE4typeEPT_PT0_S4_.kd
    .uniform_work_group_size: 1
    .uses_dynamic_stack: false
    .vgpr_count:     10
    .vgpr_spill_count: 0
    .wavefront_size: 64
  - .agpr_count:     0
    .args:
      - .address_space:  global
        .offset:         0
        .size:           8
        .value_kind:     global_buffer
      - .address_space:  global
        .offset:         8
        .size:           8
        .value_kind:     global_buffer
      - .address_space:  global
        .offset:         16
        .size:           8
        .value_kind:     global_buffer
      - .offset:         24
        .size:           4
        .value_kind:     hidden_block_count_x
      - .offset:         28
        .size:           4
        .value_kind:     hidden_block_count_y
      - .offset:         32
        .size:           4
        .value_kind:     hidden_block_count_z
      - .offset:         36
        .size:           2
        .value_kind:     hidden_group_size_x
      - .offset:         38
        .size:           2
        .value_kind:     hidden_group_size_y
      - .offset:         40
        .size:           2
        .value_kind:     hidden_group_size_z
      - .offset:         42
        .size:           2
        .value_kind:     hidden_remainder_x
      - .offset:         44
        .size:           2
        .value_kind:     hidden_remainder_y
      - .offset:         46
        .size:           2
        .value_kind:     hidden_remainder_z
      - .offset:         64
        .size:           8
        .value_kind:     hidden_global_offset_x
      - .offset:         72
        .size:           8
        .value_kind:     hidden_global_offset_y
      - .offset:         80
        .size:           8
        .value_kind:     hidden_global_offset_z
      - .offset:         88
        .size:           2
        .value_kind:     hidden_grid_dims
    .group_segment_fixed_size: 120
    .kernarg_segment_align: 8
    .kernarg_segment_size: 280
    .language:       OpenCL C
    .language_version:
      - 2
      - 0
    .max_flat_workgroup_size: 30
    .name:           _Z33head_segmented_warp_reduce_kernelIfhLj30ELj15EENSt9enable_ifIXsr10test_utilsE35device_test_enabled_for_warp_size_vIXT2_EEEvE4typeEPT_PT0_S4_
    .private_segment_fixed_size: 0
    .sgpr_count:     12
    .sgpr_spill_count: 0
    .symbol:         _Z33head_segmented_warp_reduce_kernelIfhLj30ELj15EENSt9enable_ifIXsr10test_utilsE35device_test_enabled_for_warp_size_vIXT2_EEEvE4typeEPT_PT0_S4_.kd
    .uniform_work_group_size: 1
    .uses_dynamic_stack: false
    .vgpr_count:     10
    .vgpr_spill_count: 0
    .wavefront_size: 64
  - .agpr_count:     0
    .args:
      - .address_space:  global
        .offset:         0
        .size:           8
        .value_kind:     global_buffer
      - .address_space:  global
        .offset:         8
        .size:           8
        .value_kind:     global_buffer
      - .address_space:  global
        .offset:         16
        .size:           8
        .value_kind:     global_buffer
      - .offset:         24
        .size:           4
        .value_kind:     hidden_block_count_x
      - .offset:         28
        .size:           4
        .value_kind:     hidden_block_count_y
      - .offset:         32
        .size:           4
        .value_kind:     hidden_block_count_z
      - .offset:         36
        .size:           2
        .value_kind:     hidden_group_size_x
      - .offset:         38
        .size:           2
        .value_kind:     hidden_group_size_y
      - .offset:         40
        .size:           2
        .value_kind:     hidden_group_size_z
      - .offset:         42
        .size:           2
        .value_kind:     hidden_remainder_x
      - .offset:         44
        .size:           2
        .value_kind:     hidden_remainder_y
      - .offset:         46
        .size:           2
        .value_kind:     hidden_remainder_z
      - .offset:         64
        .size:           8
        .value_kind:     hidden_global_offset_x
      - .offset:         72
        .size:           8
        .value_kind:     hidden_global_offset_y
      - .offset:         80
        .size:           8
        .value_kind:     hidden_global_offset_z
      - .offset:         88
        .size:           2
        .value_kind:     hidden_grid_dims
    .group_segment_fixed_size: 240
    .kernarg_segment_align: 8
    .kernarg_segment_size: 280
    .language:       OpenCL C
    .language_version:
      - 2
      - 0
    .max_flat_workgroup_size: 60
    .name:           _Z33head_segmented_warp_reduce_kernelIfhLj60ELj15EENSt9enable_ifIXsr10test_utilsE35device_test_enabled_for_warp_size_vIXT2_EEEvE4typeEPT_PT0_S4_
    .private_segment_fixed_size: 0
    .sgpr_count:     12
    .sgpr_spill_count: 0
    .symbol:         _Z33head_segmented_warp_reduce_kernelIfhLj60ELj15EENSt9enable_ifIXsr10test_utilsE35device_test_enabled_for_warp_size_vIXT2_EEEvE4typeEPT_PT0_S4_.kd
    .uniform_work_group_size: 1
    .uses_dynamic_stack: false
    .vgpr_count:     10
    .vgpr_spill_count: 0
    .wavefront_size: 64
  - .agpr_count:     0
    .args:
      - .address_space:  global
        .offset:         0
        .size:           8
        .value_kind:     global_buffer
      - .address_space:  global
        .offset:         8
        .size:           8
        .value_kind:     global_buffer
      - .address_space:  global
        .offset:         16
        .size:           8
        .value_kind:     global_buffer
      - .offset:         24
        .size:           4
        .value_kind:     hidden_block_count_x
      - .offset:         28
        .size:           4
        .value_kind:     hidden_block_count_y
      - .offset:         32
        .size:           4
        .value_kind:     hidden_block_count_z
      - .offset:         36
        .size:           2
        .value_kind:     hidden_group_size_x
      - .offset:         38
        .size:           2
        .value_kind:     hidden_group_size_y
      - .offset:         40
        .size:           2
        .value_kind:     hidden_group_size_z
      - .offset:         42
        .size:           2
        .value_kind:     hidden_remainder_x
      - .offset:         44
        .size:           2
        .value_kind:     hidden_remainder_y
      - .offset:         46
        .size:           2
        .value_kind:     hidden_remainder_z
      - .offset:         64
        .size:           8
        .value_kind:     hidden_global_offset_x
      - .offset:         72
        .size:           8
        .value_kind:     hidden_global_offset_y
      - .offset:         80
        .size:           8
        .value_kind:     hidden_global_offset_z
      - .offset:         88
        .size:           2
        .value_kind:     hidden_grid_dims
    .group_segment_fixed_size: 112
    .kernarg_segment_align: 8
    .kernarg_segment_size: 280
    .language:       OpenCL C
    .language_version:
      - 2
      - 0
    .max_flat_workgroup_size: 28
    .name:           _Z33head_segmented_warp_reduce_kernelIfhLj28ELj7EENSt9enable_ifIXsr10test_utilsE35device_test_enabled_for_warp_size_vIXT2_EEEvE4typeEPT_PT0_S4_
    .private_segment_fixed_size: 0
    .sgpr_count:     16
    .sgpr_spill_count: 0
    .symbol:         _Z33head_segmented_warp_reduce_kernelIfhLj28ELj7EENSt9enable_ifIXsr10test_utilsE35device_test_enabled_for_warp_size_vIXT2_EEEvE4typeEPT_PT0_S4_.kd
    .uniform_work_group_size: 1
    .uses_dynamic_stack: false
    .vgpr_count:     10
    .vgpr_spill_count: 0
    .wavefront_size: 64
  - .agpr_count:     0
    .args:
      - .address_space:  global
        .offset:         0
        .size:           8
        .value_kind:     global_buffer
      - .address_space:  global
        .offset:         8
        .size:           8
        .value_kind:     global_buffer
      - .address_space:  global
        .offset:         16
        .size:           8
        .value_kind:     global_buffer
      - .offset:         24
        .size:           4
        .value_kind:     hidden_block_count_x
      - .offset:         28
        .size:           4
        .value_kind:     hidden_block_count_y
      - .offset:         32
        .size:           4
        .value_kind:     hidden_block_count_z
      - .offset:         36
        .size:           2
        .value_kind:     hidden_group_size_x
      - .offset:         38
        .size:           2
        .value_kind:     hidden_group_size_y
      - .offset:         40
        .size:           2
        .value_kind:     hidden_group_size_z
      - .offset:         42
        .size:           2
        .value_kind:     hidden_remainder_x
      - .offset:         44
        .size:           2
        .value_kind:     hidden_remainder_y
      - .offset:         46
        .size:           2
        .value_kind:     hidden_remainder_z
      - .offset:         64
        .size:           8
        .value_kind:     hidden_global_offset_x
      - .offset:         72
        .size:           8
        .value_kind:     hidden_global_offset_y
      - .offset:         80
        .size:           8
        .value_kind:     hidden_global_offset_z
      - .offset:         88
        .size:           2
        .value_kind:     hidden_grid_dims
    .group_segment_fixed_size: 252
    .kernarg_segment_align: 8
    .kernarg_segment_size: 280
    .language:       OpenCL C
    .language_version:
      - 2
      - 0
    .max_flat_workgroup_size: 63
    .name:           _Z33head_segmented_warp_reduce_kernelIfhLj63ELj7EENSt9enable_ifIXsr10test_utilsE35device_test_enabled_for_warp_size_vIXT2_EEEvE4typeEPT_PT0_S4_
    .private_segment_fixed_size: 0
    .sgpr_count:     16
    .sgpr_spill_count: 0
    .symbol:         _Z33head_segmented_warp_reduce_kernelIfhLj63ELj7EENSt9enable_ifIXsr10test_utilsE35device_test_enabled_for_warp_size_vIXT2_EEEvE4typeEPT_PT0_S4_.kd
    .uniform_work_group_size: 1
    .uses_dynamic_stack: false
    .vgpr_count:     10
    .vgpr_spill_count: 0
    .wavefront_size: 64
  - .agpr_count:     0
    .args:
      - .address_space:  global
        .offset:         0
        .size:           8
        .value_kind:     global_buffer
      - .address_space:  global
        .offset:         8
        .size:           8
        .value_kind:     global_buffer
      - .address_space:  global
        .offset:         16
        .size:           8
        .value_kind:     global_buffer
      - .offset:         24
        .size:           4
        .value_kind:     hidden_block_count_x
      - .offset:         28
        .size:           4
        .value_kind:     hidden_block_count_y
      - .offset:         32
        .size:           4
        .value_kind:     hidden_block_count_z
      - .offset:         36
        .size:           2
        .value_kind:     hidden_group_size_x
      - .offset:         38
        .size:           2
        .value_kind:     hidden_group_size_y
      - .offset:         40
        .size:           2
        .value_kind:     hidden_group_size_z
      - .offset:         42
        .size:           2
        .value_kind:     hidden_remainder_x
      - .offset:         44
        .size:           2
        .value_kind:     hidden_remainder_y
      - .offset:         46
        .size:           2
        .value_kind:     hidden_remainder_z
      - .offset:         64
        .size:           8
        .value_kind:     hidden_global_offset_x
      - .offset:         72
        .size:           8
        .value_kind:     hidden_global_offset_y
      - .offset:         80
        .size:           8
        .value_kind:     hidden_global_offset_z
      - .offset:         88
        .size:           2
        .value_kind:     hidden_grid_dims
    .group_segment_fixed_size: 120
    .kernarg_segment_align: 8
    .kernarg_segment_size: 280
    .language:       OpenCL C
    .language_version:
      - 2
      - 0
    .max_flat_workgroup_size: 30
    .name:           _Z33head_segmented_warp_reduce_kernelIfhLj30ELj3EENSt9enable_ifIXsr10test_utilsE35device_test_enabled_for_warp_size_vIXT2_EEEvE4typeEPT_PT0_S4_
    .private_segment_fixed_size: 0
    .sgpr_count:     16
    .sgpr_spill_count: 0
    .symbol:         _Z33head_segmented_warp_reduce_kernelIfhLj30ELj3EENSt9enable_ifIXsr10test_utilsE35device_test_enabled_for_warp_size_vIXT2_EEEvE4typeEPT_PT0_S4_.kd
    .uniform_work_group_size: 1
    .uses_dynamic_stack: false
    .vgpr_count:     10
    .vgpr_spill_count: 0
    .wavefront_size: 64
  - .agpr_count:     0
    .args:
      - .address_space:  global
        .offset:         0
        .size:           8
        .value_kind:     global_buffer
      - .address_space:  global
        .offset:         8
        .size:           8
        .value_kind:     global_buffer
      - .address_space:  global
        .offset:         16
        .size:           8
        .value_kind:     global_buffer
      - .offset:         24
        .size:           4
        .value_kind:     hidden_block_count_x
      - .offset:         28
        .size:           4
        .value_kind:     hidden_block_count_y
      - .offset:         32
        .size:           4
        .value_kind:     hidden_block_count_z
      - .offset:         36
        .size:           2
        .value_kind:     hidden_group_size_x
      - .offset:         38
        .size:           2
        .value_kind:     hidden_group_size_y
      - .offset:         40
        .size:           2
        .value_kind:     hidden_group_size_z
      - .offset:         42
        .size:           2
        .value_kind:     hidden_remainder_x
      - .offset:         44
        .size:           2
        .value_kind:     hidden_remainder_y
      - .offset:         46
        .size:           2
        .value_kind:     hidden_remainder_z
      - .offset:         64
        .size:           8
        .value_kind:     hidden_global_offset_x
      - .offset:         72
        .size:           8
        .value_kind:     hidden_global_offset_y
      - .offset:         80
        .size:           8
        .value_kind:     hidden_global_offset_z
      - .offset:         88
        .size:           2
        .value_kind:     hidden_grid_dims
    .group_segment_fixed_size: 252
    .kernarg_segment_align: 8
    .kernarg_segment_size: 280
    .language:       OpenCL C
    .language_version:
      - 2
      - 0
    .max_flat_workgroup_size: 63
    .name:           _Z33head_segmented_warp_reduce_kernelIfhLj63ELj3EENSt9enable_ifIXsr10test_utilsE35device_test_enabled_for_warp_size_vIXT2_EEEvE4typeEPT_PT0_S4_
    .private_segment_fixed_size: 0
    .sgpr_count:     16
    .sgpr_spill_count: 0
    .symbol:         _Z33head_segmented_warp_reduce_kernelIfhLj63ELj3EENSt9enable_ifIXsr10test_utilsE35device_test_enabled_for_warp_size_vIXT2_EEEvE4typeEPT_PT0_S4_.kd
    .uniform_work_group_size: 1
    .uses_dynamic_stack: false
    .vgpr_count:     10
    .vgpr_spill_count: 0
    .wavefront_size: 64
  - .agpr_count:     0
    .args:
      - .address_space:  global
        .offset:         0
        .size:           8
        .value_kind:     global_buffer
      - .address_space:  global
        .offset:         8
        .size:           8
        .value_kind:     global_buffer
      - .address_space:  global
        .offset:         16
        .size:           8
        .value_kind:     global_buffer
      - .offset:         24
        .size:           4
        .value_kind:     hidden_block_count_x
      - .offset:         28
        .size:           4
        .value_kind:     hidden_block_count_y
      - .offset:         32
        .size:           4
        .value_kind:     hidden_block_count_z
      - .offset:         36
        .size:           2
        .value_kind:     hidden_group_size_x
      - .offset:         38
        .size:           2
        .value_kind:     hidden_group_size_y
      - .offset:         40
        .size:           2
        .value_kind:     hidden_group_size_z
      - .offset:         42
        .size:           2
        .value_kind:     hidden_remainder_x
      - .offset:         44
        .size:           2
        .value_kind:     hidden_remainder_y
      - .offset:         46
        .size:           2
        .value_kind:     hidden_remainder_z
      - .offset:         64
        .size:           8
        .value_kind:     hidden_global_offset_x
      - .offset:         72
        .size:           8
        .value_kind:     hidden_global_offset_y
      - .offset:         80
        .size:           8
        .value_kind:     hidden_global_offset_z
      - .offset:         88
        .size:           2
        .value_kind:     hidden_grid_dims
    .group_segment_fixed_size: 244
    .kernarg_segment_align: 8
    .kernarg_segment_size: 280
    .language:       OpenCL C
    .language_version:
      - 2
      - 0
    .max_flat_workgroup_size: 1
    .name:           _Z33head_segmented_warp_reduce_kernelIihLj1ELj61EENSt9enable_ifIXsr10test_utilsE35device_test_enabled_for_warp_size_vIXT2_EEEvE4typeEPT_PT0_S4_
    .private_segment_fixed_size: 0
    .sgpr_count:     16
    .sgpr_spill_count: 0
    .symbol:         _Z33head_segmented_warp_reduce_kernelIihLj1ELj61EENSt9enable_ifIXsr10test_utilsE35device_test_enabled_for_warp_size_vIXT2_EEEvE4typeEPT_PT0_S4_.kd
    .uniform_work_group_size: 1
    .uses_dynamic_stack: false
    .vgpr_count:     7
    .vgpr_spill_count: 0
    .wavefront_size: 64
  - .agpr_count:     0
    .args:
      - .address_space:  global
        .offset:         0
        .size:           8
        .value_kind:     global_buffer
      - .address_space:  global
        .offset:         8
        .size:           8
        .value_kind:     global_buffer
      - .address_space:  global
        .offset:         16
        .size:           8
        .value_kind:     global_buffer
      - .offset:         24
        .size:           4
        .value_kind:     hidden_block_count_x
      - .offset:         28
        .size:           4
        .value_kind:     hidden_block_count_y
      - .offset:         32
        .size:           4
        .value_kind:     hidden_block_count_z
      - .offset:         36
        .size:           2
        .value_kind:     hidden_group_size_x
      - .offset:         38
        .size:           2
        .value_kind:     hidden_group_size_y
      - .offset:         40
        .size:           2
        .value_kind:     hidden_group_size_z
      - .offset:         42
        .size:           2
        .value_kind:     hidden_remainder_x
      - .offset:         44
        .size:           2
        .value_kind:     hidden_remainder_y
      - .offset:         46
        .size:           2
        .value_kind:     hidden_remainder_z
      - .offset:         64
        .size:           8
        .value_kind:     hidden_global_offset_x
      - .offset:         72
        .size:           8
        .value_kind:     hidden_global_offset_y
      - .offset:         80
        .size:           8
        .value_kind:     hidden_global_offset_z
      - .offset:         88
        .size:           2
        .value_kind:     hidden_grid_dims
    .group_segment_fixed_size: 244
    .kernarg_segment_align: 8
    .kernarg_segment_size: 280
    .language:       OpenCL C
    .language_version:
      - 2
      - 0
    .max_flat_workgroup_size: 61
    .name:           _Z33head_segmented_warp_reduce_kernelIihLj61ELj61EENSt9enable_ifIXsr10test_utilsE35device_test_enabled_for_warp_size_vIXT2_EEEvE4typeEPT_PT0_S4_
    .private_segment_fixed_size: 0
    .sgpr_count:     12
    .sgpr_spill_count: 0
    .symbol:         _Z33head_segmented_warp_reduce_kernelIihLj61ELj61EENSt9enable_ifIXsr10test_utilsE35device_test_enabled_for_warp_size_vIXT2_EEEvE4typeEPT_PT0_S4_.kd
    .uniform_work_group_size: 1
    .uses_dynamic_stack: false
    .vgpr_count:     10
    .vgpr_spill_count: 0
    .wavefront_size: 64
  - .agpr_count:     0
    .args:
      - .address_space:  global
        .offset:         0
        .size:           8
        .value_kind:     global_buffer
      - .address_space:  global
        .offset:         8
        .size:           8
        .value_kind:     global_buffer
      - .address_space:  global
        .offset:         16
        .size:           8
        .value_kind:     global_buffer
      - .offset:         24
        .size:           4
        .value_kind:     hidden_block_count_x
      - .offset:         28
        .size:           4
        .value_kind:     hidden_block_count_y
      - .offset:         32
        .size:           4
        .value_kind:     hidden_block_count_z
      - .offset:         36
        .size:           2
        .value_kind:     hidden_group_size_x
      - .offset:         38
        .size:           2
        .value_kind:     hidden_group_size_y
      - .offset:         40
        .size:           2
        .value_kind:     hidden_group_size_z
      - .offset:         42
        .size:           2
        .value_kind:     hidden_remainder_x
      - .offset:         44
        .size:           2
        .value_kind:     hidden_remainder_y
      - .offset:         46
        .size:           2
        .value_kind:     hidden_remainder_z
      - .offset:         64
        .size:           8
        .value_kind:     hidden_global_offset_x
      - .offset:         72
        .size:           8
        .value_kind:     hidden_global_offset_y
      - .offset:         80
        .size:           8
        .value_kind:     hidden_global_offset_z
      - .offset:         88
        .size:           2
        .value_kind:     hidden_grid_dims
    .group_segment_fixed_size: 148
    .kernarg_segment_align: 8
    .kernarg_segment_size: 280
    .language:       OpenCL C
    .language_version:
      - 2
      - 0
    .max_flat_workgroup_size: 1
    .name:           _Z33head_segmented_warp_reduce_kernelIihLj1ELj37EENSt9enable_ifIXsr10test_utilsE35device_test_enabled_for_warp_size_vIXT2_EEEvE4typeEPT_PT0_S4_
    .private_segment_fixed_size: 0
    .sgpr_count:     16
    .sgpr_spill_count: 0
    .symbol:         _Z33head_segmented_warp_reduce_kernelIihLj1ELj37EENSt9enable_ifIXsr10test_utilsE35device_test_enabled_for_warp_size_vIXT2_EEEvE4typeEPT_PT0_S4_.kd
    .uniform_work_group_size: 1
    .uses_dynamic_stack: false
    .vgpr_count:     7
    .vgpr_spill_count: 0
    .wavefront_size: 64
  - .agpr_count:     0
    .args:
      - .address_space:  global
        .offset:         0
        .size:           8
        .value_kind:     global_buffer
      - .address_space:  global
        .offset:         8
        .size:           8
        .value_kind:     global_buffer
      - .address_space:  global
        .offset:         16
        .size:           8
        .value_kind:     global_buffer
      - .offset:         24
        .size:           4
        .value_kind:     hidden_block_count_x
      - .offset:         28
        .size:           4
        .value_kind:     hidden_block_count_y
      - .offset:         32
        .size:           4
        .value_kind:     hidden_block_count_z
      - .offset:         36
        .size:           2
        .value_kind:     hidden_group_size_x
      - .offset:         38
        .size:           2
        .value_kind:     hidden_group_size_y
      - .offset:         40
        .size:           2
        .value_kind:     hidden_group_size_z
      - .offset:         42
        .size:           2
        .value_kind:     hidden_remainder_x
      - .offset:         44
        .size:           2
        .value_kind:     hidden_remainder_y
      - .offset:         46
        .size:           2
        .value_kind:     hidden_remainder_z
      - .offset:         64
        .size:           8
        .value_kind:     hidden_global_offset_x
      - .offset:         72
        .size:           8
        .value_kind:     hidden_global_offset_y
      - .offset:         80
        .size:           8
        .value_kind:     hidden_global_offset_z
      - .offset:         88
        .size:           2
        .value_kind:     hidden_grid_dims
    .group_segment_fixed_size: 148
    .kernarg_segment_align: 8
    .kernarg_segment_size: 280
    .language:       OpenCL C
    .language_version:
      - 2
      - 0
    .max_flat_workgroup_size: 37
    .name:           _Z33head_segmented_warp_reduce_kernelIihLj37ELj37EENSt9enable_ifIXsr10test_utilsE35device_test_enabled_for_warp_size_vIXT2_EEEvE4typeEPT_PT0_S4_
    .private_segment_fixed_size: 0
    .sgpr_count:     12
    .sgpr_spill_count: 0
    .symbol:         _Z33head_segmented_warp_reduce_kernelIihLj37ELj37EENSt9enable_ifIXsr10test_utilsE35device_test_enabled_for_warp_size_vIXT2_EEEvE4typeEPT_PT0_S4_.kd
    .uniform_work_group_size: 1
    .uses_dynamic_stack: false
    .vgpr_count:     10
    .vgpr_spill_count: 0
    .wavefront_size: 64
  - .agpr_count:     0
    .args:
      - .address_space:  global
        .offset:         0
        .size:           8
        .value_kind:     global_buffer
      - .address_space:  global
        .offset:         8
        .size:           8
        .value_kind:     global_buffer
      - .address_space:  global
        .offset:         16
        .size:           8
        .value_kind:     global_buffer
      - .offset:         24
        .size:           4
        .value_kind:     hidden_block_count_x
      - .offset:         28
        .size:           4
        .value_kind:     hidden_block_count_y
      - .offset:         32
        .size:           4
        .value_kind:     hidden_block_count_z
      - .offset:         36
        .size:           2
        .value_kind:     hidden_group_size_x
      - .offset:         38
        .size:           2
        .value_kind:     hidden_group_size_y
      - .offset:         40
        .size:           2
        .value_kind:     hidden_group_size_z
      - .offset:         42
        .size:           2
        .value_kind:     hidden_remainder_x
      - .offset:         44
        .size:           2
        .value_kind:     hidden_remainder_y
      - .offset:         46
        .size:           2
        .value_kind:     hidden_remainder_z
      - .offset:         64
        .size:           8
        .value_kind:     hidden_global_offset_x
      - .offset:         72
        .size:           8
        .value_kind:     hidden_global_offset_y
      - .offset:         80
        .size:           8
        .value_kind:     hidden_global_offset_z
      - .offset:         88
        .size:           2
        .value_kind:     hidden_grid_dims
    .group_segment_fixed_size: 120
    .kernarg_segment_align: 8
    .kernarg_segment_size: 280
    .language:       OpenCL C
    .language_version:
      - 2
      - 0
    .max_flat_workgroup_size: 30
    .name:           _Z33head_segmented_warp_reduce_kernelIihLj30ELj15EENSt9enable_ifIXsr10test_utilsE35device_test_enabled_for_warp_size_vIXT2_EEEvE4typeEPT_PT0_S4_
    .private_segment_fixed_size: 0
    .sgpr_count:     12
    .sgpr_spill_count: 0
    .symbol:         _Z33head_segmented_warp_reduce_kernelIihLj30ELj15EENSt9enable_ifIXsr10test_utilsE35device_test_enabled_for_warp_size_vIXT2_EEEvE4typeEPT_PT0_S4_.kd
    .uniform_work_group_size: 1
    .uses_dynamic_stack: false
    .vgpr_count:     10
    .vgpr_spill_count: 0
    .wavefront_size: 64
  - .agpr_count:     0
    .args:
      - .address_space:  global
        .offset:         0
        .size:           8
        .value_kind:     global_buffer
      - .address_space:  global
        .offset:         8
        .size:           8
        .value_kind:     global_buffer
      - .address_space:  global
        .offset:         16
        .size:           8
        .value_kind:     global_buffer
      - .offset:         24
        .size:           4
        .value_kind:     hidden_block_count_x
      - .offset:         28
        .size:           4
        .value_kind:     hidden_block_count_y
      - .offset:         32
        .size:           4
        .value_kind:     hidden_block_count_z
      - .offset:         36
        .size:           2
        .value_kind:     hidden_group_size_x
      - .offset:         38
        .size:           2
        .value_kind:     hidden_group_size_y
      - .offset:         40
        .size:           2
        .value_kind:     hidden_group_size_z
      - .offset:         42
        .size:           2
        .value_kind:     hidden_remainder_x
      - .offset:         44
        .size:           2
        .value_kind:     hidden_remainder_y
      - .offset:         46
        .size:           2
        .value_kind:     hidden_remainder_z
      - .offset:         64
        .size:           8
        .value_kind:     hidden_global_offset_x
      - .offset:         72
        .size:           8
        .value_kind:     hidden_global_offset_y
      - .offset:         80
        .size:           8
        .value_kind:     hidden_global_offset_z
      - .offset:         88
        .size:           2
        .value_kind:     hidden_grid_dims
    .group_segment_fixed_size: 240
    .kernarg_segment_align: 8
    .kernarg_segment_size: 280
    .language:       OpenCL C
    .language_version:
      - 2
      - 0
    .max_flat_workgroup_size: 60
    .name:           _Z33head_segmented_warp_reduce_kernelIihLj60ELj15EENSt9enable_ifIXsr10test_utilsE35device_test_enabled_for_warp_size_vIXT2_EEEvE4typeEPT_PT0_S4_
    .private_segment_fixed_size: 0
    .sgpr_count:     12
    .sgpr_spill_count: 0
    .symbol:         _Z33head_segmented_warp_reduce_kernelIihLj60ELj15EENSt9enable_ifIXsr10test_utilsE35device_test_enabled_for_warp_size_vIXT2_EEEvE4typeEPT_PT0_S4_.kd
    .uniform_work_group_size: 1
    .uses_dynamic_stack: false
    .vgpr_count:     10
    .vgpr_spill_count: 0
    .wavefront_size: 64
  - .agpr_count:     0
    .args:
      - .address_space:  global
        .offset:         0
        .size:           8
        .value_kind:     global_buffer
      - .address_space:  global
        .offset:         8
        .size:           8
        .value_kind:     global_buffer
      - .address_space:  global
        .offset:         16
        .size:           8
        .value_kind:     global_buffer
      - .offset:         24
        .size:           4
        .value_kind:     hidden_block_count_x
      - .offset:         28
        .size:           4
        .value_kind:     hidden_block_count_y
      - .offset:         32
        .size:           4
        .value_kind:     hidden_block_count_z
      - .offset:         36
        .size:           2
        .value_kind:     hidden_group_size_x
      - .offset:         38
        .size:           2
        .value_kind:     hidden_group_size_y
      - .offset:         40
        .size:           2
        .value_kind:     hidden_group_size_z
      - .offset:         42
        .size:           2
        .value_kind:     hidden_remainder_x
      - .offset:         44
        .size:           2
        .value_kind:     hidden_remainder_y
      - .offset:         46
        .size:           2
        .value_kind:     hidden_remainder_z
      - .offset:         64
        .size:           8
        .value_kind:     hidden_global_offset_x
      - .offset:         72
        .size:           8
        .value_kind:     hidden_global_offset_y
      - .offset:         80
        .size:           8
        .value_kind:     hidden_global_offset_z
      - .offset:         88
        .size:           2
        .value_kind:     hidden_grid_dims
    .group_segment_fixed_size: 112
    .kernarg_segment_align: 8
    .kernarg_segment_size: 280
    .language:       OpenCL C
    .language_version:
      - 2
      - 0
    .max_flat_workgroup_size: 28
    .name:           _Z33head_segmented_warp_reduce_kernelIihLj28ELj7EENSt9enable_ifIXsr10test_utilsE35device_test_enabled_for_warp_size_vIXT2_EEEvE4typeEPT_PT0_S4_
    .private_segment_fixed_size: 0
    .sgpr_count:     16
    .sgpr_spill_count: 0
    .symbol:         _Z33head_segmented_warp_reduce_kernelIihLj28ELj7EENSt9enable_ifIXsr10test_utilsE35device_test_enabled_for_warp_size_vIXT2_EEEvE4typeEPT_PT0_S4_.kd
    .uniform_work_group_size: 1
    .uses_dynamic_stack: false
    .vgpr_count:     10
    .vgpr_spill_count: 0
    .wavefront_size: 64
  - .agpr_count:     0
    .args:
      - .address_space:  global
        .offset:         0
        .size:           8
        .value_kind:     global_buffer
      - .address_space:  global
        .offset:         8
        .size:           8
        .value_kind:     global_buffer
      - .address_space:  global
        .offset:         16
        .size:           8
        .value_kind:     global_buffer
      - .offset:         24
        .size:           4
        .value_kind:     hidden_block_count_x
      - .offset:         28
        .size:           4
        .value_kind:     hidden_block_count_y
      - .offset:         32
        .size:           4
        .value_kind:     hidden_block_count_z
      - .offset:         36
        .size:           2
        .value_kind:     hidden_group_size_x
      - .offset:         38
        .size:           2
        .value_kind:     hidden_group_size_y
      - .offset:         40
        .size:           2
        .value_kind:     hidden_group_size_z
      - .offset:         42
        .size:           2
        .value_kind:     hidden_remainder_x
      - .offset:         44
        .size:           2
        .value_kind:     hidden_remainder_y
      - .offset:         46
        .size:           2
        .value_kind:     hidden_remainder_z
      - .offset:         64
        .size:           8
        .value_kind:     hidden_global_offset_x
      - .offset:         72
        .size:           8
        .value_kind:     hidden_global_offset_y
      - .offset:         80
        .size:           8
        .value_kind:     hidden_global_offset_z
      - .offset:         88
        .size:           2
        .value_kind:     hidden_grid_dims
    .group_segment_fixed_size: 252
    .kernarg_segment_align: 8
    .kernarg_segment_size: 280
    .language:       OpenCL C
    .language_version:
      - 2
      - 0
    .max_flat_workgroup_size: 63
    .name:           _Z33head_segmented_warp_reduce_kernelIihLj63ELj7EENSt9enable_ifIXsr10test_utilsE35device_test_enabled_for_warp_size_vIXT2_EEEvE4typeEPT_PT0_S4_
    .private_segment_fixed_size: 0
    .sgpr_count:     16
    .sgpr_spill_count: 0
    .symbol:         _Z33head_segmented_warp_reduce_kernelIihLj63ELj7EENSt9enable_ifIXsr10test_utilsE35device_test_enabled_for_warp_size_vIXT2_EEEvE4typeEPT_PT0_S4_.kd
    .uniform_work_group_size: 1
    .uses_dynamic_stack: false
    .vgpr_count:     10
    .vgpr_spill_count: 0
    .wavefront_size: 64
  - .agpr_count:     0
    .args:
      - .address_space:  global
        .offset:         0
        .size:           8
        .value_kind:     global_buffer
      - .address_space:  global
        .offset:         8
        .size:           8
        .value_kind:     global_buffer
      - .address_space:  global
        .offset:         16
        .size:           8
        .value_kind:     global_buffer
      - .offset:         24
        .size:           4
        .value_kind:     hidden_block_count_x
      - .offset:         28
        .size:           4
        .value_kind:     hidden_block_count_y
      - .offset:         32
        .size:           4
        .value_kind:     hidden_block_count_z
      - .offset:         36
        .size:           2
        .value_kind:     hidden_group_size_x
      - .offset:         38
        .size:           2
        .value_kind:     hidden_group_size_y
      - .offset:         40
        .size:           2
        .value_kind:     hidden_group_size_z
      - .offset:         42
        .size:           2
        .value_kind:     hidden_remainder_x
      - .offset:         44
        .size:           2
        .value_kind:     hidden_remainder_y
      - .offset:         46
        .size:           2
        .value_kind:     hidden_remainder_z
      - .offset:         64
        .size:           8
        .value_kind:     hidden_global_offset_x
      - .offset:         72
        .size:           8
        .value_kind:     hidden_global_offset_y
      - .offset:         80
        .size:           8
        .value_kind:     hidden_global_offset_z
      - .offset:         88
        .size:           2
        .value_kind:     hidden_grid_dims
    .group_segment_fixed_size: 120
    .kernarg_segment_align: 8
    .kernarg_segment_size: 280
    .language:       OpenCL C
    .language_version:
      - 2
      - 0
    .max_flat_workgroup_size: 30
    .name:           _Z33head_segmented_warp_reduce_kernelIihLj30ELj3EENSt9enable_ifIXsr10test_utilsE35device_test_enabled_for_warp_size_vIXT2_EEEvE4typeEPT_PT0_S4_
    .private_segment_fixed_size: 0
    .sgpr_count:     16
    .sgpr_spill_count: 0
    .symbol:         _Z33head_segmented_warp_reduce_kernelIihLj30ELj3EENSt9enable_ifIXsr10test_utilsE35device_test_enabled_for_warp_size_vIXT2_EEEvE4typeEPT_PT0_S4_.kd
    .uniform_work_group_size: 1
    .uses_dynamic_stack: false
    .vgpr_count:     10
    .vgpr_spill_count: 0
    .wavefront_size: 64
  - .agpr_count:     0
    .args:
      - .address_space:  global
        .offset:         0
        .size:           8
        .value_kind:     global_buffer
      - .address_space:  global
        .offset:         8
        .size:           8
        .value_kind:     global_buffer
      - .address_space:  global
        .offset:         16
        .size:           8
        .value_kind:     global_buffer
      - .offset:         24
        .size:           4
        .value_kind:     hidden_block_count_x
      - .offset:         28
        .size:           4
        .value_kind:     hidden_block_count_y
      - .offset:         32
        .size:           4
        .value_kind:     hidden_block_count_z
      - .offset:         36
        .size:           2
        .value_kind:     hidden_group_size_x
      - .offset:         38
        .size:           2
        .value_kind:     hidden_group_size_y
      - .offset:         40
        .size:           2
        .value_kind:     hidden_group_size_z
      - .offset:         42
        .size:           2
        .value_kind:     hidden_remainder_x
      - .offset:         44
        .size:           2
        .value_kind:     hidden_remainder_y
      - .offset:         46
        .size:           2
        .value_kind:     hidden_remainder_z
      - .offset:         64
        .size:           8
        .value_kind:     hidden_global_offset_x
      - .offset:         72
        .size:           8
        .value_kind:     hidden_global_offset_y
      - .offset:         80
        .size:           8
        .value_kind:     hidden_global_offset_z
      - .offset:         88
        .size:           2
        .value_kind:     hidden_grid_dims
    .group_segment_fixed_size: 252
    .kernarg_segment_align: 8
    .kernarg_segment_size: 280
    .language:       OpenCL C
    .language_version:
      - 2
      - 0
    .max_flat_workgroup_size: 63
    .name:           _Z33head_segmented_warp_reduce_kernelIihLj63ELj3EENSt9enable_ifIXsr10test_utilsE35device_test_enabled_for_warp_size_vIXT2_EEEvE4typeEPT_PT0_S4_
    .private_segment_fixed_size: 0
    .sgpr_count:     16
    .sgpr_spill_count: 0
    .symbol:         _Z33head_segmented_warp_reduce_kernelIihLj63ELj3EENSt9enable_ifIXsr10test_utilsE35device_test_enabled_for_warp_size_vIXT2_EEEvE4typeEPT_PT0_S4_.kd
    .uniform_work_group_size: 1
    .uses_dynamic_stack: false
    .vgpr_count:     10
    .vgpr_spill_count: 0
    .wavefront_size: 64
  - .agpr_count:     0
    .args:
      - .address_space:  global
        .offset:         0
        .size:           8
        .value_kind:     global_buffer
      - .address_space:  global
        .offset:         8
        .size:           8
        .value_kind:     global_buffer
      - .address_space:  global
        .offset:         16
        .size:           8
        .value_kind:     global_buffer
      - .offset:         24
        .size:           4
        .value_kind:     hidden_block_count_x
      - .offset:         28
        .size:           4
        .value_kind:     hidden_block_count_y
      - .offset:         32
        .size:           4
        .value_kind:     hidden_block_count_z
      - .offset:         36
        .size:           2
        .value_kind:     hidden_group_size_x
      - .offset:         38
        .size:           2
        .value_kind:     hidden_group_size_y
      - .offset:         40
        .size:           2
        .value_kind:     hidden_group_size_z
      - .offset:         42
        .size:           2
        .value_kind:     hidden_remainder_x
      - .offset:         44
        .size:           2
        .value_kind:     hidden_remainder_y
      - .offset:         46
        .size:           2
        .value_kind:     hidden_remainder_z
      - .offset:         64
        .size:           8
        .value_kind:     hidden_global_offset_x
      - .offset:         72
        .size:           8
        .value_kind:     hidden_global_offset_y
      - .offset:         80
        .size:           8
        .value_kind:     hidden_global_offset_z
      - .offset:         88
        .size:           2
        .value_kind:     hidden_grid_dims
    .group_segment_fixed_size: 0
    .kernarg_segment_align: 8
    .kernarg_segment_size: 280
    .language:       OpenCL C
    .language_version:
      - 2
      - 0
    .max_flat_workgroup_size: 256
    .name:           _Z33head_segmented_warp_reduce_kernelI12hip_bfloat16hLj256ELj64EENSt9enable_ifIXsr10test_utilsE35device_test_enabled_for_warp_size_vIXT2_EEEvE4typeEPT_PT0_S5_
    .private_segment_fixed_size: 0
    .sgpr_count:     16
    .sgpr_spill_count: 0
    .symbol:         _Z33head_segmented_warp_reduce_kernelI12hip_bfloat16hLj256ELj64EENSt9enable_ifIXsr10test_utilsE35device_test_enabled_for_warp_size_vIXT2_EEEvE4typeEPT_PT0_S5_.kd
    .uniform_work_group_size: 1
    .uses_dynamic_stack: false
    .vgpr_count:     10
    .vgpr_spill_count: 0
    .wavefront_size: 64
  - .agpr_count:     0
    .args:
      - .address_space:  global
        .offset:         0
        .size:           8
        .value_kind:     global_buffer
      - .address_space:  global
        .offset:         8
        .size:           8
        .value_kind:     global_buffer
      - .address_space:  global
        .offset:         16
        .size:           8
        .value_kind:     global_buffer
      - .offset:         24
        .size:           4
        .value_kind:     hidden_block_count_x
      - .offset:         28
        .size:           4
        .value_kind:     hidden_block_count_y
      - .offset:         32
        .size:           4
        .value_kind:     hidden_block_count_z
      - .offset:         36
        .size:           2
        .value_kind:     hidden_group_size_x
      - .offset:         38
        .size:           2
        .value_kind:     hidden_group_size_y
      - .offset:         40
        .size:           2
        .value_kind:     hidden_group_size_z
      - .offset:         42
        .size:           2
        .value_kind:     hidden_remainder_x
      - .offset:         44
        .size:           2
        .value_kind:     hidden_remainder_y
      - .offset:         46
        .size:           2
        .value_kind:     hidden_remainder_z
      - .offset:         64
        .size:           8
        .value_kind:     hidden_global_offset_x
      - .offset:         72
        .size:           8
        .value_kind:     hidden_global_offset_y
      - .offset:         80
        .size:           8
        .value_kind:     hidden_global_offset_z
      - .offset:         88
        .size:           2
        .value_kind:     hidden_grid_dims
    .group_segment_fixed_size: 0
    .kernarg_segment_align: 8
    .kernarg_segment_size: 280
    .language:       OpenCL C
    .language_version:
      - 2
      - 0
    .max_flat_workgroup_size: 128
    .name:           _Z33head_segmented_warp_reduce_kernelI12hip_bfloat16hLj128ELj32EENSt9enable_ifIXsr10test_utilsE35device_test_enabled_for_warp_size_vIXT2_EEEvE4typeEPT_PT0_S5_
    .private_segment_fixed_size: 0
    .sgpr_count:     16
    .sgpr_spill_count: 0
    .symbol:         _Z33head_segmented_warp_reduce_kernelI12hip_bfloat16hLj128ELj32EENSt9enable_ifIXsr10test_utilsE35device_test_enabled_for_warp_size_vIXT2_EEEvE4typeEPT_PT0_S5_.kd
    .uniform_work_group_size: 1
    .uses_dynamic_stack: false
    .vgpr_count:     11
    .vgpr_spill_count: 0
    .wavefront_size: 64
  - .agpr_count:     0
    .args:
      - .address_space:  global
        .offset:         0
        .size:           8
        .value_kind:     global_buffer
      - .address_space:  global
        .offset:         8
        .size:           8
        .value_kind:     global_buffer
      - .address_space:  global
        .offset:         16
        .size:           8
        .value_kind:     global_buffer
      - .offset:         24
        .size:           4
        .value_kind:     hidden_block_count_x
      - .offset:         28
        .size:           4
        .value_kind:     hidden_block_count_y
      - .offset:         32
        .size:           4
        .value_kind:     hidden_block_count_z
      - .offset:         36
        .size:           2
        .value_kind:     hidden_group_size_x
      - .offset:         38
        .size:           2
        .value_kind:     hidden_group_size_y
      - .offset:         40
        .size:           2
        .value_kind:     hidden_group_size_z
      - .offset:         42
        .size:           2
        .value_kind:     hidden_remainder_x
      - .offset:         44
        .size:           2
        .value_kind:     hidden_remainder_y
      - .offset:         46
        .size:           2
        .value_kind:     hidden_remainder_z
      - .offset:         64
        .size:           8
        .value_kind:     hidden_global_offset_x
      - .offset:         72
        .size:           8
        .value_kind:     hidden_global_offset_y
      - .offset:         80
        .size:           8
        .value_kind:     hidden_global_offset_z
      - .offset:         88
        .size:           2
        .value_kind:     hidden_grid_dims
    .group_segment_fixed_size: 0
    .kernarg_segment_align: 8
    .kernarg_segment_size: 280
    .language:       OpenCL C
    .language_version:
      - 2
      - 0
    .max_flat_workgroup_size: 64
    .name:           _Z33head_segmented_warp_reduce_kernelI12hip_bfloat16hLj64ELj16EENSt9enable_ifIXsr10test_utilsE35device_test_enabled_for_warp_size_vIXT2_EEEvE4typeEPT_PT0_S5_
    .private_segment_fixed_size: 0
    .sgpr_count:     16
    .sgpr_spill_count: 0
    .symbol:         _Z33head_segmented_warp_reduce_kernelI12hip_bfloat16hLj64ELj16EENSt9enable_ifIXsr10test_utilsE35device_test_enabled_for_warp_size_vIXT2_EEEvE4typeEPT_PT0_S5_.kd
    .uniform_work_group_size: 1
    .uses_dynamic_stack: false
    .vgpr_count:     11
    .vgpr_spill_count: 0
    .wavefront_size: 64
  - .agpr_count:     0
    .args:
      - .address_space:  global
        .offset:         0
        .size:           8
        .value_kind:     global_buffer
      - .address_space:  global
        .offset:         8
        .size:           8
        .value_kind:     global_buffer
      - .address_space:  global
        .offset:         16
        .size:           8
        .value_kind:     global_buffer
      - .offset:         24
        .size:           4
        .value_kind:     hidden_block_count_x
      - .offset:         28
        .size:           4
        .value_kind:     hidden_block_count_y
      - .offset:         32
        .size:           4
        .value_kind:     hidden_block_count_z
      - .offset:         36
        .size:           2
        .value_kind:     hidden_group_size_x
      - .offset:         38
        .size:           2
        .value_kind:     hidden_group_size_y
      - .offset:         40
        .size:           2
        .value_kind:     hidden_group_size_z
      - .offset:         42
        .size:           2
        .value_kind:     hidden_remainder_x
      - .offset:         44
        .size:           2
        .value_kind:     hidden_remainder_y
      - .offset:         46
        .size:           2
        .value_kind:     hidden_remainder_z
      - .offset:         64
        .size:           8
        .value_kind:     hidden_global_offset_x
      - .offset:         72
        .size:           8
        .value_kind:     hidden_global_offset_y
      - .offset:         80
        .size:           8
        .value_kind:     hidden_global_offset_z
      - .offset:         88
        .size:           2
        .value_kind:     hidden_grid_dims
    .group_segment_fixed_size: 0
    .kernarg_segment_align: 8
    .kernarg_segment_size: 280
    .language:       OpenCL C
    .language_version:
      - 2
      - 0
    .max_flat_workgroup_size: 32
    .name:           _Z33head_segmented_warp_reduce_kernelI12hip_bfloat16hLj32ELj8EENSt9enable_ifIXsr10test_utilsE35device_test_enabled_for_warp_size_vIXT2_EEEvE4typeEPT_PT0_S5_
    .private_segment_fixed_size: 0
    .sgpr_count:     16
    .sgpr_spill_count: 0
    .symbol:         _Z33head_segmented_warp_reduce_kernelI12hip_bfloat16hLj32ELj8EENSt9enable_ifIXsr10test_utilsE35device_test_enabled_for_warp_size_vIXT2_EEEvE4typeEPT_PT0_S5_.kd
    .uniform_work_group_size: 1
    .uses_dynamic_stack: false
    .vgpr_count:     11
    .vgpr_spill_count: 0
    .wavefront_size: 64
  - .agpr_count:     0
    .args:
      - .address_space:  global
        .offset:         0
        .size:           8
        .value_kind:     global_buffer
      - .address_space:  global
        .offset:         8
        .size:           8
        .value_kind:     global_buffer
      - .address_space:  global
        .offset:         16
        .size:           8
        .value_kind:     global_buffer
      - .offset:         24
        .size:           4
        .value_kind:     hidden_block_count_x
      - .offset:         28
        .size:           4
        .value_kind:     hidden_block_count_y
      - .offset:         32
        .size:           4
        .value_kind:     hidden_block_count_z
      - .offset:         36
        .size:           2
        .value_kind:     hidden_group_size_x
      - .offset:         38
        .size:           2
        .value_kind:     hidden_group_size_y
      - .offset:         40
        .size:           2
        .value_kind:     hidden_group_size_z
      - .offset:         42
        .size:           2
        .value_kind:     hidden_remainder_x
      - .offset:         44
        .size:           2
        .value_kind:     hidden_remainder_y
      - .offset:         46
        .size:           2
        .value_kind:     hidden_remainder_z
      - .offset:         64
        .size:           8
        .value_kind:     hidden_global_offset_x
      - .offset:         72
        .size:           8
        .value_kind:     hidden_global_offset_y
      - .offset:         80
        .size:           8
        .value_kind:     hidden_global_offset_z
      - .offset:         88
        .size:           2
        .value_kind:     hidden_grid_dims
    .group_segment_fixed_size: 0
    .kernarg_segment_align: 8
    .kernarg_segment_size: 280
    .language:       OpenCL C
    .language_version:
      - 2
      - 0
    .max_flat_workgroup_size: 64
    .name:           _Z33head_segmented_warp_reduce_kernelI12hip_bfloat16hLj64ELj8EENSt9enable_ifIXsr10test_utilsE35device_test_enabled_for_warp_size_vIXT2_EEEvE4typeEPT_PT0_S5_
    .private_segment_fixed_size: 0
    .sgpr_count:     16
    .sgpr_spill_count: 0
    .symbol:         _Z33head_segmented_warp_reduce_kernelI12hip_bfloat16hLj64ELj8EENSt9enable_ifIXsr10test_utilsE35device_test_enabled_for_warp_size_vIXT2_EEEvE4typeEPT_PT0_S5_.kd
    .uniform_work_group_size: 1
    .uses_dynamic_stack: false
    .vgpr_count:     11
    .vgpr_spill_count: 0
    .wavefront_size: 64
  - .agpr_count:     0
    .args:
      - .address_space:  global
        .offset:         0
        .size:           8
        .value_kind:     global_buffer
      - .address_space:  global
        .offset:         8
        .size:           8
        .value_kind:     global_buffer
      - .address_space:  global
        .offset:         16
        .size:           8
        .value_kind:     global_buffer
      - .offset:         24
        .size:           4
        .value_kind:     hidden_block_count_x
      - .offset:         28
        .size:           4
        .value_kind:     hidden_block_count_y
      - .offset:         32
        .size:           4
        .value_kind:     hidden_block_count_z
      - .offset:         36
        .size:           2
        .value_kind:     hidden_group_size_x
      - .offset:         38
        .size:           2
        .value_kind:     hidden_group_size_y
      - .offset:         40
        .size:           2
        .value_kind:     hidden_group_size_z
      - .offset:         42
        .size:           2
        .value_kind:     hidden_remainder_x
      - .offset:         44
        .size:           2
        .value_kind:     hidden_remainder_y
      - .offset:         46
        .size:           2
        .value_kind:     hidden_remainder_z
      - .offset:         64
        .size:           8
        .value_kind:     hidden_global_offset_x
      - .offset:         72
        .size:           8
        .value_kind:     hidden_global_offset_y
      - .offset:         80
        .size:           8
        .value_kind:     hidden_global_offset_z
      - .offset:         88
        .size:           2
        .value_kind:     hidden_grid_dims
    .group_segment_fixed_size: 0
    .kernarg_segment_align: 8
    .kernarg_segment_size: 280
    .language:       OpenCL C
    .language_version:
      - 2
      - 0
    .max_flat_workgroup_size: 32
    .name:           _Z33head_segmented_warp_reduce_kernelI12hip_bfloat16hLj32ELj4EENSt9enable_ifIXsr10test_utilsE35device_test_enabled_for_warp_size_vIXT2_EEEvE4typeEPT_PT0_S5_
    .private_segment_fixed_size: 0
    .sgpr_count:     16
    .sgpr_spill_count: 0
    .symbol:         _Z33head_segmented_warp_reduce_kernelI12hip_bfloat16hLj32ELj4EENSt9enable_ifIXsr10test_utilsE35device_test_enabled_for_warp_size_vIXT2_EEEvE4typeEPT_PT0_S5_.kd
    .uniform_work_group_size: 1
    .uses_dynamic_stack: false
    .vgpr_count:     11
    .vgpr_spill_count: 0
    .wavefront_size: 64
  - .agpr_count:     0
    .args:
      - .address_space:  global
        .offset:         0
        .size:           8
        .value_kind:     global_buffer
      - .address_space:  global
        .offset:         8
        .size:           8
        .value_kind:     global_buffer
      - .address_space:  global
        .offset:         16
        .size:           8
        .value_kind:     global_buffer
      - .offset:         24
        .size:           4
        .value_kind:     hidden_block_count_x
      - .offset:         28
        .size:           4
        .value_kind:     hidden_block_count_y
      - .offset:         32
        .size:           4
        .value_kind:     hidden_block_count_z
      - .offset:         36
        .size:           2
        .value_kind:     hidden_group_size_x
      - .offset:         38
        .size:           2
        .value_kind:     hidden_group_size_y
      - .offset:         40
        .size:           2
        .value_kind:     hidden_group_size_z
      - .offset:         42
        .size:           2
        .value_kind:     hidden_remainder_x
      - .offset:         44
        .size:           2
        .value_kind:     hidden_remainder_y
      - .offset:         46
        .size:           2
        .value_kind:     hidden_remainder_z
      - .offset:         64
        .size:           8
        .value_kind:     hidden_global_offset_x
      - .offset:         72
        .size:           8
        .value_kind:     hidden_global_offset_y
      - .offset:         80
        .size:           8
        .value_kind:     hidden_global_offset_z
      - .offset:         88
        .size:           2
        .value_kind:     hidden_grid_dims
    .group_segment_fixed_size: 0
    .kernarg_segment_align: 8
    .kernarg_segment_size: 280
    .language:       OpenCL C
    .language_version:
      - 2
      - 0
    .max_flat_workgroup_size: 64
    .name:           _Z33head_segmented_warp_reduce_kernelI12hip_bfloat16hLj64ELj4EENSt9enable_ifIXsr10test_utilsE35device_test_enabled_for_warp_size_vIXT2_EEEvE4typeEPT_PT0_S5_
    .private_segment_fixed_size: 0
    .sgpr_count:     16
    .sgpr_spill_count: 0
    .symbol:         _Z33head_segmented_warp_reduce_kernelI12hip_bfloat16hLj64ELj4EENSt9enable_ifIXsr10test_utilsE35device_test_enabled_for_warp_size_vIXT2_EEEvE4typeEPT_PT0_S5_.kd
    .uniform_work_group_size: 1
    .uses_dynamic_stack: false
    .vgpr_count:     11
    .vgpr_spill_count: 0
    .wavefront_size: 64
  - .agpr_count:     0
    .args:
      - .address_space:  global
        .offset:         0
        .size:           8
        .value_kind:     global_buffer
      - .address_space:  global
        .offset:         8
        .size:           8
        .value_kind:     global_buffer
      - .address_space:  global
        .offset:         16
        .size:           8
        .value_kind:     global_buffer
      - .offset:         24
        .size:           4
        .value_kind:     hidden_block_count_x
      - .offset:         28
        .size:           4
        .value_kind:     hidden_block_count_y
      - .offset:         32
        .size:           4
        .value_kind:     hidden_block_count_z
      - .offset:         36
        .size:           2
        .value_kind:     hidden_group_size_x
      - .offset:         38
        .size:           2
        .value_kind:     hidden_group_size_y
      - .offset:         40
        .size:           2
        .value_kind:     hidden_group_size_z
      - .offset:         42
        .size:           2
        .value_kind:     hidden_remainder_x
      - .offset:         44
        .size:           2
        .value_kind:     hidden_remainder_y
      - .offset:         46
        .size:           2
        .value_kind:     hidden_remainder_z
      - .offset:         64
        .size:           8
        .value_kind:     hidden_global_offset_x
      - .offset:         72
        .size:           8
        .value_kind:     hidden_global_offset_y
      - .offset:         80
        .size:           8
        .value_kind:     hidden_global_offset_z
      - .offset:         88
        .size:           2
        .value_kind:     hidden_grid_dims
    .group_segment_fixed_size: 0
    .kernarg_segment_align: 8
    .kernarg_segment_size: 280
    .language:       OpenCL C
    .language_version:
      - 2
      - 0
    .max_flat_workgroup_size: 32
    .name:           _Z33head_segmented_warp_reduce_kernelI12hip_bfloat16hLj32ELj2EENSt9enable_ifIXsr10test_utilsE35device_test_enabled_for_warp_size_vIXT2_EEEvE4typeEPT_PT0_S5_
    .private_segment_fixed_size: 0
    .sgpr_count:     16
    .sgpr_spill_count: 0
    .symbol:         _Z33head_segmented_warp_reduce_kernelI12hip_bfloat16hLj32ELj2EENSt9enable_ifIXsr10test_utilsE35device_test_enabled_for_warp_size_vIXT2_EEEvE4typeEPT_PT0_S5_.kd
    .uniform_work_group_size: 1
    .uses_dynamic_stack: false
    .vgpr_count:     10
    .vgpr_spill_count: 0
    .wavefront_size: 64
  - .agpr_count:     0
    .args:
      - .address_space:  global
        .offset:         0
        .size:           8
        .value_kind:     global_buffer
      - .address_space:  global
        .offset:         8
        .size:           8
        .value_kind:     global_buffer
      - .address_space:  global
        .offset:         16
        .size:           8
        .value_kind:     global_buffer
      - .offset:         24
        .size:           4
        .value_kind:     hidden_block_count_x
      - .offset:         28
        .size:           4
        .value_kind:     hidden_block_count_y
      - .offset:         32
        .size:           4
        .value_kind:     hidden_block_count_z
      - .offset:         36
        .size:           2
        .value_kind:     hidden_group_size_x
      - .offset:         38
        .size:           2
        .value_kind:     hidden_group_size_y
      - .offset:         40
        .size:           2
        .value_kind:     hidden_group_size_z
      - .offset:         42
        .size:           2
        .value_kind:     hidden_remainder_x
      - .offset:         44
        .size:           2
        .value_kind:     hidden_remainder_y
      - .offset:         46
        .size:           2
        .value_kind:     hidden_remainder_z
      - .offset:         64
        .size:           8
        .value_kind:     hidden_global_offset_x
      - .offset:         72
        .size:           8
        .value_kind:     hidden_global_offset_y
      - .offset:         80
        .size:           8
        .value_kind:     hidden_global_offset_z
      - .offset:         88
        .size:           2
        .value_kind:     hidden_grid_dims
    .group_segment_fixed_size: 0
    .kernarg_segment_align: 8
    .kernarg_segment_size: 280
    .language:       OpenCL C
    .language_version:
      - 2
      - 0
    .max_flat_workgroup_size: 64
    .name:           _Z33head_segmented_warp_reduce_kernelI12hip_bfloat16hLj64ELj2EENSt9enable_ifIXsr10test_utilsE35device_test_enabled_for_warp_size_vIXT2_EEEvE4typeEPT_PT0_S5_
    .private_segment_fixed_size: 0
    .sgpr_count:     16
    .sgpr_spill_count: 0
    .symbol:         _Z33head_segmented_warp_reduce_kernelI12hip_bfloat16hLj64ELj2EENSt9enable_ifIXsr10test_utilsE35device_test_enabled_for_warp_size_vIXT2_EEEvE4typeEPT_PT0_S5_.kd
    .uniform_work_group_size: 1
    .uses_dynamic_stack: false
    .vgpr_count:     10
    .vgpr_spill_count: 0
    .wavefront_size: 64
  - .agpr_count:     0
    .args:
      - .address_space:  global
        .offset:         0
        .size:           8
        .value_kind:     global_buffer
      - .address_space:  global
        .offset:         8
        .size:           8
        .value_kind:     global_buffer
      - .address_space:  global
        .offset:         16
        .size:           8
        .value_kind:     global_buffer
      - .offset:         24
        .size:           4
        .value_kind:     hidden_block_count_x
      - .offset:         28
        .size:           4
        .value_kind:     hidden_block_count_y
      - .offset:         32
        .size:           4
        .value_kind:     hidden_block_count_z
      - .offset:         36
        .size:           2
        .value_kind:     hidden_group_size_x
      - .offset:         38
        .size:           2
        .value_kind:     hidden_group_size_y
      - .offset:         40
        .size:           2
        .value_kind:     hidden_group_size_z
      - .offset:         42
        .size:           2
        .value_kind:     hidden_remainder_x
      - .offset:         44
        .size:           2
        .value_kind:     hidden_remainder_y
      - .offset:         46
        .size:           2
        .value_kind:     hidden_remainder_z
      - .offset:         64
        .size:           8
        .value_kind:     hidden_global_offset_x
      - .offset:         72
        .size:           8
        .value_kind:     hidden_global_offset_y
      - .offset:         80
        .size:           8
        .value_kind:     hidden_global_offset_z
      - .offset:         88
        .size:           2
        .value_kind:     hidden_grid_dims
    .group_segment_fixed_size: 0
    .kernarg_segment_align: 8
    .kernarg_segment_size: 280
    .language:       OpenCL C
    .language_version:
      - 2
      - 0
    .max_flat_workgroup_size: 32
    .name:           _Z33head_segmented_warp_reduce_kernelI12hip_bfloat16hLj32ELj1EENSt9enable_ifIXsr10test_utilsE35device_test_enabled_for_warp_size_vIXT2_EEEvE4typeEPT_PT0_S5_
    .private_segment_fixed_size: 0
    .sgpr_count:     12
    .sgpr_spill_count: 0
    .symbol:         _Z33head_segmented_warp_reduce_kernelI12hip_bfloat16hLj32ELj1EENSt9enable_ifIXsr10test_utilsE35device_test_enabled_for_warp_size_vIXT2_EEEvE4typeEPT_PT0_S5_.kd
    .uniform_work_group_size: 1
    .uses_dynamic_stack: false
    .vgpr_count:     4
    .vgpr_spill_count: 0
    .wavefront_size: 64
  - .agpr_count:     0
    .args:
      - .address_space:  global
        .offset:         0
        .size:           8
        .value_kind:     global_buffer
      - .address_space:  global
        .offset:         8
        .size:           8
        .value_kind:     global_buffer
      - .address_space:  global
        .offset:         16
        .size:           8
        .value_kind:     global_buffer
      - .offset:         24
        .size:           4
        .value_kind:     hidden_block_count_x
      - .offset:         28
        .size:           4
        .value_kind:     hidden_block_count_y
      - .offset:         32
        .size:           4
        .value_kind:     hidden_block_count_z
      - .offset:         36
        .size:           2
        .value_kind:     hidden_group_size_x
      - .offset:         38
        .size:           2
        .value_kind:     hidden_group_size_y
      - .offset:         40
        .size:           2
        .value_kind:     hidden_group_size_z
      - .offset:         42
        .size:           2
        .value_kind:     hidden_remainder_x
      - .offset:         44
        .size:           2
        .value_kind:     hidden_remainder_y
      - .offset:         46
        .size:           2
        .value_kind:     hidden_remainder_z
      - .offset:         64
        .size:           8
        .value_kind:     hidden_global_offset_x
      - .offset:         72
        .size:           8
        .value_kind:     hidden_global_offset_y
      - .offset:         80
        .size:           8
        .value_kind:     hidden_global_offset_z
      - .offset:         88
        .size:           2
        .value_kind:     hidden_grid_dims
    .group_segment_fixed_size: 0
    .kernarg_segment_align: 8
    .kernarg_segment_size: 280
    .language:       OpenCL C
    .language_version:
      - 2
      - 0
    .max_flat_workgroup_size: 64
    .name:           _Z33head_segmented_warp_reduce_kernelI12hip_bfloat16hLj64ELj1EENSt9enable_ifIXsr10test_utilsE35device_test_enabled_for_warp_size_vIXT2_EEEvE4typeEPT_PT0_S5_
    .private_segment_fixed_size: 0
    .sgpr_count:     12
    .sgpr_spill_count: 0
    .symbol:         _Z33head_segmented_warp_reduce_kernelI12hip_bfloat16hLj64ELj1EENSt9enable_ifIXsr10test_utilsE35device_test_enabled_for_warp_size_vIXT2_EEEvE4typeEPT_PT0_S5_.kd
    .uniform_work_group_size: 1
    .uses_dynamic_stack: false
    .vgpr_count:     4
    .vgpr_spill_count: 0
    .wavefront_size: 64
  - .agpr_count:     0
    .args:
      - .address_space:  global
        .offset:         0
        .size:           8
        .value_kind:     global_buffer
      - .address_space:  global
        .offset:         8
        .size:           8
        .value_kind:     global_buffer
      - .address_space:  global
        .offset:         16
        .size:           8
        .value_kind:     global_buffer
      - .offset:         24
        .size:           4
        .value_kind:     hidden_block_count_x
      - .offset:         28
        .size:           4
        .value_kind:     hidden_block_count_y
      - .offset:         32
        .size:           4
        .value_kind:     hidden_block_count_z
      - .offset:         36
        .size:           2
        .value_kind:     hidden_group_size_x
      - .offset:         38
        .size:           2
        .value_kind:     hidden_group_size_y
      - .offset:         40
        .size:           2
        .value_kind:     hidden_group_size_z
      - .offset:         42
        .size:           2
        .value_kind:     hidden_remainder_x
      - .offset:         44
        .size:           2
        .value_kind:     hidden_remainder_y
      - .offset:         46
        .size:           2
        .value_kind:     hidden_remainder_z
      - .offset:         64
        .size:           8
        .value_kind:     hidden_global_offset_x
      - .offset:         72
        .size:           8
        .value_kind:     hidden_global_offset_y
      - .offset:         80
        .size:           8
        .value_kind:     hidden_global_offset_z
      - .offset:         88
        .size:           2
        .value_kind:     hidden_grid_dims
    .group_segment_fixed_size: 0
    .kernarg_segment_align: 8
    .kernarg_segment_size: 280
    .language:       OpenCL C
    .language_version:
      - 2
      - 0
    .max_flat_workgroup_size: 256
    .name:           _Z33head_segmented_warp_reduce_kernelI6__halfhLj256ELj64EENSt9enable_ifIXsr10test_utilsE35device_test_enabled_for_warp_size_vIXT2_EEEvE4typeEPT_PT0_S5_
    .private_segment_fixed_size: 0
    .sgpr_count:     18
    .sgpr_spill_count: 0
    .symbol:         _Z33head_segmented_warp_reduce_kernelI6__halfhLj256ELj64EENSt9enable_ifIXsr10test_utilsE35device_test_enabled_for_warp_size_vIXT2_EEEvE4typeEPT_PT0_S5_.kd
    .uniform_work_group_size: 1
    .uses_dynamic_stack: false
    .vgpr_count:     18
    .vgpr_spill_count: 0
    .wavefront_size: 64
  - .agpr_count:     0
    .args:
      - .address_space:  global
        .offset:         0
        .size:           8
        .value_kind:     global_buffer
      - .address_space:  global
        .offset:         8
        .size:           8
        .value_kind:     global_buffer
      - .address_space:  global
        .offset:         16
        .size:           8
        .value_kind:     global_buffer
      - .offset:         24
        .size:           4
        .value_kind:     hidden_block_count_x
      - .offset:         28
        .size:           4
        .value_kind:     hidden_block_count_y
      - .offset:         32
        .size:           4
        .value_kind:     hidden_block_count_z
      - .offset:         36
        .size:           2
        .value_kind:     hidden_group_size_x
      - .offset:         38
        .size:           2
        .value_kind:     hidden_group_size_y
      - .offset:         40
        .size:           2
        .value_kind:     hidden_group_size_z
      - .offset:         42
        .size:           2
        .value_kind:     hidden_remainder_x
      - .offset:         44
        .size:           2
        .value_kind:     hidden_remainder_y
      - .offset:         46
        .size:           2
        .value_kind:     hidden_remainder_z
      - .offset:         64
        .size:           8
        .value_kind:     hidden_global_offset_x
      - .offset:         72
        .size:           8
        .value_kind:     hidden_global_offset_y
      - .offset:         80
        .size:           8
        .value_kind:     hidden_global_offset_z
      - .offset:         88
        .size:           2
        .value_kind:     hidden_grid_dims
    .group_segment_fixed_size: 0
    .kernarg_segment_align: 8
    .kernarg_segment_size: 280
    .language:       OpenCL C
    .language_version:
      - 2
      - 0
    .max_flat_workgroup_size: 128
    .name:           _Z33head_segmented_warp_reduce_kernelI6__halfhLj128ELj32EENSt9enable_ifIXsr10test_utilsE35device_test_enabled_for_warp_size_vIXT2_EEEvE4typeEPT_PT0_S5_
    .private_segment_fixed_size: 0
    .sgpr_count:     14
    .sgpr_spill_count: 0
    .symbol:         _Z33head_segmented_warp_reduce_kernelI6__halfhLj128ELj32EENSt9enable_ifIXsr10test_utilsE35device_test_enabled_for_warp_size_vIXT2_EEEvE4typeEPT_PT0_S5_.kd
    .uniform_work_group_size: 1
    .uses_dynamic_stack: false
    .vgpr_count:     15
    .vgpr_spill_count: 0
    .wavefront_size: 64
  - .agpr_count:     0
    .args:
      - .address_space:  global
        .offset:         0
        .size:           8
        .value_kind:     global_buffer
      - .address_space:  global
        .offset:         8
        .size:           8
        .value_kind:     global_buffer
      - .address_space:  global
        .offset:         16
        .size:           8
        .value_kind:     global_buffer
      - .offset:         24
        .size:           4
        .value_kind:     hidden_block_count_x
      - .offset:         28
        .size:           4
        .value_kind:     hidden_block_count_y
      - .offset:         32
        .size:           4
        .value_kind:     hidden_block_count_z
      - .offset:         36
        .size:           2
        .value_kind:     hidden_group_size_x
      - .offset:         38
        .size:           2
        .value_kind:     hidden_group_size_y
      - .offset:         40
        .size:           2
        .value_kind:     hidden_group_size_z
      - .offset:         42
        .size:           2
        .value_kind:     hidden_remainder_x
      - .offset:         44
        .size:           2
        .value_kind:     hidden_remainder_y
      - .offset:         46
        .size:           2
        .value_kind:     hidden_remainder_z
      - .offset:         64
        .size:           8
        .value_kind:     hidden_global_offset_x
      - .offset:         72
        .size:           8
        .value_kind:     hidden_global_offset_y
      - .offset:         80
        .size:           8
        .value_kind:     hidden_global_offset_z
      - .offset:         88
        .size:           2
        .value_kind:     hidden_grid_dims
    .group_segment_fixed_size: 0
    .kernarg_segment_align: 8
    .kernarg_segment_size: 280
    .language:       OpenCL C
    .language_version:
      - 2
      - 0
    .max_flat_workgroup_size: 64
    .name:           _Z33head_segmented_warp_reduce_kernelI6__halfhLj64ELj16EENSt9enable_ifIXsr10test_utilsE35device_test_enabled_for_warp_size_vIXT2_EEEvE4typeEPT_PT0_S5_
    .private_segment_fixed_size: 0
    .sgpr_count:     14
    .sgpr_spill_count: 0
    .symbol:         _Z33head_segmented_warp_reduce_kernelI6__halfhLj64ELj16EENSt9enable_ifIXsr10test_utilsE35device_test_enabled_for_warp_size_vIXT2_EEEvE4typeEPT_PT0_S5_.kd
    .uniform_work_group_size: 1
    .uses_dynamic_stack: false
    .vgpr_count:     14
    .vgpr_spill_count: 0
    .wavefront_size: 64
  - .agpr_count:     0
    .args:
      - .address_space:  global
        .offset:         0
        .size:           8
        .value_kind:     global_buffer
      - .address_space:  global
        .offset:         8
        .size:           8
        .value_kind:     global_buffer
      - .address_space:  global
        .offset:         16
        .size:           8
        .value_kind:     global_buffer
      - .offset:         24
        .size:           4
        .value_kind:     hidden_block_count_x
      - .offset:         28
        .size:           4
        .value_kind:     hidden_block_count_y
      - .offset:         32
        .size:           4
        .value_kind:     hidden_block_count_z
      - .offset:         36
        .size:           2
        .value_kind:     hidden_group_size_x
      - .offset:         38
        .size:           2
        .value_kind:     hidden_group_size_y
      - .offset:         40
        .size:           2
        .value_kind:     hidden_group_size_z
      - .offset:         42
        .size:           2
        .value_kind:     hidden_remainder_x
      - .offset:         44
        .size:           2
        .value_kind:     hidden_remainder_y
      - .offset:         46
        .size:           2
        .value_kind:     hidden_remainder_z
      - .offset:         64
        .size:           8
        .value_kind:     hidden_global_offset_x
      - .offset:         72
        .size:           8
        .value_kind:     hidden_global_offset_y
      - .offset:         80
        .size:           8
        .value_kind:     hidden_global_offset_z
      - .offset:         88
        .size:           2
        .value_kind:     hidden_grid_dims
    .group_segment_fixed_size: 0
    .kernarg_segment_align: 8
    .kernarg_segment_size: 280
    .language:       OpenCL C
    .language_version:
      - 2
      - 0
    .max_flat_workgroup_size: 32
    .name:           _Z33head_segmented_warp_reduce_kernelI6__halfhLj32ELj8EENSt9enable_ifIXsr10test_utilsE35device_test_enabled_for_warp_size_vIXT2_EEEvE4typeEPT_PT0_S5_
    .private_segment_fixed_size: 0
    .sgpr_count:     16
    .sgpr_spill_count: 0
    .symbol:         _Z33head_segmented_warp_reduce_kernelI6__halfhLj32ELj8EENSt9enable_ifIXsr10test_utilsE35device_test_enabled_for_warp_size_vIXT2_EEEvE4typeEPT_PT0_S5_.kd
    .uniform_work_group_size: 1
    .uses_dynamic_stack: false
    .vgpr_count:     13
    .vgpr_spill_count: 0
    .wavefront_size: 64
  - .agpr_count:     0
    .args:
      - .address_space:  global
        .offset:         0
        .size:           8
        .value_kind:     global_buffer
      - .address_space:  global
        .offset:         8
        .size:           8
        .value_kind:     global_buffer
      - .address_space:  global
        .offset:         16
        .size:           8
        .value_kind:     global_buffer
      - .offset:         24
        .size:           4
        .value_kind:     hidden_block_count_x
      - .offset:         28
        .size:           4
        .value_kind:     hidden_block_count_y
      - .offset:         32
        .size:           4
        .value_kind:     hidden_block_count_z
      - .offset:         36
        .size:           2
        .value_kind:     hidden_group_size_x
      - .offset:         38
        .size:           2
        .value_kind:     hidden_group_size_y
      - .offset:         40
        .size:           2
        .value_kind:     hidden_group_size_z
      - .offset:         42
        .size:           2
        .value_kind:     hidden_remainder_x
      - .offset:         44
        .size:           2
        .value_kind:     hidden_remainder_y
      - .offset:         46
        .size:           2
        .value_kind:     hidden_remainder_z
      - .offset:         64
        .size:           8
        .value_kind:     hidden_global_offset_x
      - .offset:         72
        .size:           8
        .value_kind:     hidden_global_offset_y
      - .offset:         80
        .size:           8
        .value_kind:     hidden_global_offset_z
      - .offset:         88
        .size:           2
        .value_kind:     hidden_grid_dims
    .group_segment_fixed_size: 0
    .kernarg_segment_align: 8
    .kernarg_segment_size: 280
    .language:       OpenCL C
    .language_version:
      - 2
      - 0
    .max_flat_workgroup_size: 64
    .name:           _Z33head_segmented_warp_reduce_kernelI6__halfhLj64ELj8EENSt9enable_ifIXsr10test_utilsE35device_test_enabled_for_warp_size_vIXT2_EEEvE4typeEPT_PT0_S5_
    .private_segment_fixed_size: 0
    .sgpr_count:     16
    .sgpr_spill_count: 0
    .symbol:         _Z33head_segmented_warp_reduce_kernelI6__halfhLj64ELj8EENSt9enable_ifIXsr10test_utilsE35device_test_enabled_for_warp_size_vIXT2_EEEvE4typeEPT_PT0_S5_.kd
    .uniform_work_group_size: 1
    .uses_dynamic_stack: false
    .vgpr_count:     13
    .vgpr_spill_count: 0
    .wavefront_size: 64
  - .agpr_count:     0
    .args:
      - .address_space:  global
        .offset:         0
        .size:           8
        .value_kind:     global_buffer
      - .address_space:  global
        .offset:         8
        .size:           8
        .value_kind:     global_buffer
      - .address_space:  global
        .offset:         16
        .size:           8
        .value_kind:     global_buffer
      - .offset:         24
        .size:           4
        .value_kind:     hidden_block_count_x
      - .offset:         28
        .size:           4
        .value_kind:     hidden_block_count_y
      - .offset:         32
        .size:           4
        .value_kind:     hidden_block_count_z
      - .offset:         36
        .size:           2
        .value_kind:     hidden_group_size_x
      - .offset:         38
        .size:           2
        .value_kind:     hidden_group_size_y
      - .offset:         40
        .size:           2
        .value_kind:     hidden_group_size_z
      - .offset:         42
        .size:           2
        .value_kind:     hidden_remainder_x
      - .offset:         44
        .size:           2
        .value_kind:     hidden_remainder_y
      - .offset:         46
        .size:           2
        .value_kind:     hidden_remainder_z
      - .offset:         64
        .size:           8
        .value_kind:     hidden_global_offset_x
      - .offset:         72
        .size:           8
        .value_kind:     hidden_global_offset_y
      - .offset:         80
        .size:           8
        .value_kind:     hidden_global_offset_z
      - .offset:         88
        .size:           2
        .value_kind:     hidden_grid_dims
    .group_segment_fixed_size: 0
    .kernarg_segment_align: 8
    .kernarg_segment_size: 280
    .language:       OpenCL C
    .language_version:
      - 2
      - 0
    .max_flat_workgroup_size: 32
    .name:           _Z33head_segmented_warp_reduce_kernelI6__halfhLj32ELj4EENSt9enable_ifIXsr10test_utilsE35device_test_enabled_for_warp_size_vIXT2_EEEvE4typeEPT_PT0_S5_
    .private_segment_fixed_size: 0
    .sgpr_count:     14
    .sgpr_spill_count: 0
    .symbol:         _Z33head_segmented_warp_reduce_kernelI6__halfhLj32ELj4EENSt9enable_ifIXsr10test_utilsE35device_test_enabled_for_warp_size_vIXT2_EEEvE4typeEPT_PT0_S5_.kd
    .uniform_work_group_size: 1
    .uses_dynamic_stack: false
    .vgpr_count:     11
    .vgpr_spill_count: 0
    .wavefront_size: 64
  - .agpr_count:     0
    .args:
      - .address_space:  global
        .offset:         0
        .size:           8
        .value_kind:     global_buffer
      - .address_space:  global
        .offset:         8
        .size:           8
        .value_kind:     global_buffer
      - .address_space:  global
        .offset:         16
        .size:           8
        .value_kind:     global_buffer
      - .offset:         24
        .size:           4
        .value_kind:     hidden_block_count_x
      - .offset:         28
        .size:           4
        .value_kind:     hidden_block_count_y
      - .offset:         32
        .size:           4
        .value_kind:     hidden_block_count_z
      - .offset:         36
        .size:           2
        .value_kind:     hidden_group_size_x
      - .offset:         38
        .size:           2
        .value_kind:     hidden_group_size_y
      - .offset:         40
        .size:           2
        .value_kind:     hidden_group_size_z
      - .offset:         42
        .size:           2
        .value_kind:     hidden_remainder_x
      - .offset:         44
        .size:           2
        .value_kind:     hidden_remainder_y
      - .offset:         46
        .size:           2
        .value_kind:     hidden_remainder_z
      - .offset:         64
        .size:           8
        .value_kind:     hidden_global_offset_x
      - .offset:         72
        .size:           8
        .value_kind:     hidden_global_offset_y
      - .offset:         80
        .size:           8
        .value_kind:     hidden_global_offset_z
      - .offset:         88
        .size:           2
        .value_kind:     hidden_grid_dims
    .group_segment_fixed_size: 0
    .kernarg_segment_align: 8
    .kernarg_segment_size: 280
    .language:       OpenCL C
    .language_version:
      - 2
      - 0
    .max_flat_workgroup_size: 64
    .name:           _Z33head_segmented_warp_reduce_kernelI6__halfhLj64ELj4EENSt9enable_ifIXsr10test_utilsE35device_test_enabled_for_warp_size_vIXT2_EEEvE4typeEPT_PT0_S5_
    .private_segment_fixed_size: 0
    .sgpr_count:     14
    .sgpr_spill_count: 0
    .symbol:         _Z33head_segmented_warp_reduce_kernelI6__halfhLj64ELj4EENSt9enable_ifIXsr10test_utilsE35device_test_enabled_for_warp_size_vIXT2_EEEvE4typeEPT_PT0_S5_.kd
    .uniform_work_group_size: 1
    .uses_dynamic_stack: false
    .vgpr_count:     11
    .vgpr_spill_count: 0
    .wavefront_size: 64
  - .agpr_count:     0
    .args:
      - .address_space:  global
        .offset:         0
        .size:           8
        .value_kind:     global_buffer
      - .address_space:  global
        .offset:         8
        .size:           8
        .value_kind:     global_buffer
      - .address_space:  global
        .offset:         16
        .size:           8
        .value_kind:     global_buffer
      - .offset:         24
        .size:           4
        .value_kind:     hidden_block_count_x
      - .offset:         28
        .size:           4
        .value_kind:     hidden_block_count_y
      - .offset:         32
        .size:           4
        .value_kind:     hidden_block_count_z
      - .offset:         36
        .size:           2
        .value_kind:     hidden_group_size_x
      - .offset:         38
        .size:           2
        .value_kind:     hidden_group_size_y
      - .offset:         40
        .size:           2
        .value_kind:     hidden_group_size_z
      - .offset:         42
        .size:           2
        .value_kind:     hidden_remainder_x
      - .offset:         44
        .size:           2
        .value_kind:     hidden_remainder_y
      - .offset:         46
        .size:           2
        .value_kind:     hidden_remainder_z
      - .offset:         64
        .size:           8
        .value_kind:     hidden_global_offset_x
      - .offset:         72
        .size:           8
        .value_kind:     hidden_global_offset_y
      - .offset:         80
        .size:           8
        .value_kind:     hidden_global_offset_z
      - .offset:         88
        .size:           2
        .value_kind:     hidden_grid_dims
    .group_segment_fixed_size: 0
    .kernarg_segment_align: 8
    .kernarg_segment_size: 280
    .language:       OpenCL C
    .language_version:
      - 2
      - 0
    .max_flat_workgroup_size: 32
    .name:           _Z33head_segmented_warp_reduce_kernelI6__halfhLj32ELj2EENSt9enable_ifIXsr10test_utilsE35device_test_enabled_for_warp_size_vIXT2_EEEvE4typeEPT_PT0_S5_
    .private_segment_fixed_size: 0
    .sgpr_count:     14
    .sgpr_spill_count: 0
    .symbol:         _Z33head_segmented_warp_reduce_kernelI6__halfhLj32ELj2EENSt9enable_ifIXsr10test_utilsE35device_test_enabled_for_warp_size_vIXT2_EEEvE4typeEPT_PT0_S5_.kd
    .uniform_work_group_size: 1
    .uses_dynamic_stack: false
    .vgpr_count:     10
    .vgpr_spill_count: 0
    .wavefront_size: 64
  - .agpr_count:     0
    .args:
      - .address_space:  global
        .offset:         0
        .size:           8
        .value_kind:     global_buffer
      - .address_space:  global
        .offset:         8
        .size:           8
        .value_kind:     global_buffer
      - .address_space:  global
        .offset:         16
        .size:           8
        .value_kind:     global_buffer
      - .offset:         24
        .size:           4
        .value_kind:     hidden_block_count_x
      - .offset:         28
        .size:           4
        .value_kind:     hidden_block_count_y
      - .offset:         32
        .size:           4
        .value_kind:     hidden_block_count_z
      - .offset:         36
        .size:           2
        .value_kind:     hidden_group_size_x
      - .offset:         38
        .size:           2
        .value_kind:     hidden_group_size_y
      - .offset:         40
        .size:           2
        .value_kind:     hidden_group_size_z
      - .offset:         42
        .size:           2
        .value_kind:     hidden_remainder_x
      - .offset:         44
        .size:           2
        .value_kind:     hidden_remainder_y
      - .offset:         46
        .size:           2
        .value_kind:     hidden_remainder_z
      - .offset:         64
        .size:           8
        .value_kind:     hidden_global_offset_x
      - .offset:         72
        .size:           8
        .value_kind:     hidden_global_offset_y
      - .offset:         80
        .size:           8
        .value_kind:     hidden_global_offset_z
      - .offset:         88
        .size:           2
        .value_kind:     hidden_grid_dims
    .group_segment_fixed_size: 0
    .kernarg_segment_align: 8
    .kernarg_segment_size: 280
    .language:       OpenCL C
    .language_version:
      - 2
      - 0
    .max_flat_workgroup_size: 64
    .name:           _Z33head_segmented_warp_reduce_kernelI6__halfhLj64ELj2EENSt9enable_ifIXsr10test_utilsE35device_test_enabled_for_warp_size_vIXT2_EEEvE4typeEPT_PT0_S5_
    .private_segment_fixed_size: 0
    .sgpr_count:     14
    .sgpr_spill_count: 0
    .symbol:         _Z33head_segmented_warp_reduce_kernelI6__halfhLj64ELj2EENSt9enable_ifIXsr10test_utilsE35device_test_enabled_for_warp_size_vIXT2_EEEvE4typeEPT_PT0_S5_.kd
    .uniform_work_group_size: 1
    .uses_dynamic_stack: false
    .vgpr_count:     10
    .vgpr_spill_count: 0
    .wavefront_size: 64
  - .agpr_count:     0
    .args:
      - .address_space:  global
        .offset:         0
        .size:           8
        .value_kind:     global_buffer
      - .address_space:  global
        .offset:         8
        .size:           8
        .value_kind:     global_buffer
      - .address_space:  global
        .offset:         16
        .size:           8
        .value_kind:     global_buffer
      - .offset:         24
        .size:           4
        .value_kind:     hidden_block_count_x
      - .offset:         28
        .size:           4
        .value_kind:     hidden_block_count_y
      - .offset:         32
        .size:           4
        .value_kind:     hidden_block_count_z
      - .offset:         36
        .size:           2
        .value_kind:     hidden_group_size_x
      - .offset:         38
        .size:           2
        .value_kind:     hidden_group_size_y
      - .offset:         40
        .size:           2
        .value_kind:     hidden_group_size_z
      - .offset:         42
        .size:           2
        .value_kind:     hidden_remainder_x
      - .offset:         44
        .size:           2
        .value_kind:     hidden_remainder_y
      - .offset:         46
        .size:           2
        .value_kind:     hidden_remainder_z
      - .offset:         64
        .size:           8
        .value_kind:     hidden_global_offset_x
      - .offset:         72
        .size:           8
        .value_kind:     hidden_global_offset_y
      - .offset:         80
        .size:           8
        .value_kind:     hidden_global_offset_z
      - .offset:         88
        .size:           2
        .value_kind:     hidden_grid_dims
    .group_segment_fixed_size: 0
    .kernarg_segment_align: 8
    .kernarg_segment_size: 280
    .language:       OpenCL C
    .language_version:
      - 2
      - 0
    .max_flat_workgroup_size: 32
    .name:           _Z33head_segmented_warp_reduce_kernelI6__halfhLj32ELj1EENSt9enable_ifIXsr10test_utilsE35device_test_enabled_for_warp_size_vIXT2_EEEvE4typeEPT_PT0_S5_
    .private_segment_fixed_size: 0
    .sgpr_count:     12
    .sgpr_spill_count: 0
    .symbol:         _Z33head_segmented_warp_reduce_kernelI6__halfhLj32ELj1EENSt9enable_ifIXsr10test_utilsE35device_test_enabled_for_warp_size_vIXT2_EEEvE4typeEPT_PT0_S5_.kd
    .uniform_work_group_size: 1
    .uses_dynamic_stack: false
    .vgpr_count:     4
    .vgpr_spill_count: 0
    .wavefront_size: 64
  - .agpr_count:     0
    .args:
      - .address_space:  global
        .offset:         0
        .size:           8
        .value_kind:     global_buffer
      - .address_space:  global
        .offset:         8
        .size:           8
        .value_kind:     global_buffer
      - .address_space:  global
        .offset:         16
        .size:           8
        .value_kind:     global_buffer
      - .offset:         24
        .size:           4
        .value_kind:     hidden_block_count_x
      - .offset:         28
        .size:           4
        .value_kind:     hidden_block_count_y
      - .offset:         32
        .size:           4
        .value_kind:     hidden_block_count_z
      - .offset:         36
        .size:           2
        .value_kind:     hidden_group_size_x
      - .offset:         38
        .size:           2
        .value_kind:     hidden_group_size_y
      - .offset:         40
        .size:           2
        .value_kind:     hidden_group_size_z
      - .offset:         42
        .size:           2
        .value_kind:     hidden_remainder_x
      - .offset:         44
        .size:           2
        .value_kind:     hidden_remainder_y
      - .offset:         46
        .size:           2
        .value_kind:     hidden_remainder_z
      - .offset:         64
        .size:           8
        .value_kind:     hidden_global_offset_x
      - .offset:         72
        .size:           8
        .value_kind:     hidden_global_offset_y
      - .offset:         80
        .size:           8
        .value_kind:     hidden_global_offset_z
      - .offset:         88
        .size:           2
        .value_kind:     hidden_grid_dims
    .group_segment_fixed_size: 0
    .kernarg_segment_align: 8
    .kernarg_segment_size: 280
    .language:       OpenCL C
    .language_version:
      - 2
      - 0
    .max_flat_workgroup_size: 64
    .name:           _Z33head_segmented_warp_reduce_kernelI6__halfhLj64ELj1EENSt9enable_ifIXsr10test_utilsE35device_test_enabled_for_warp_size_vIXT2_EEEvE4typeEPT_PT0_S5_
    .private_segment_fixed_size: 0
    .sgpr_count:     12
    .sgpr_spill_count: 0
    .symbol:         _Z33head_segmented_warp_reduce_kernelI6__halfhLj64ELj1EENSt9enable_ifIXsr10test_utilsE35device_test_enabled_for_warp_size_vIXT2_EEEvE4typeEPT_PT0_S5_.kd
    .uniform_work_group_size: 1
    .uses_dynamic_stack: false
    .vgpr_count:     4
    .vgpr_spill_count: 0
    .wavefront_size: 64
  - .agpr_count:     0
    .args:
      - .address_space:  global
        .offset:         0
        .size:           8
        .value_kind:     global_buffer
      - .address_space:  global
        .offset:         8
        .size:           8
        .value_kind:     global_buffer
      - .address_space:  global
        .offset:         16
        .size:           8
        .value_kind:     global_buffer
      - .offset:         24
        .size:           4
        .value_kind:     hidden_block_count_x
      - .offset:         28
        .size:           4
        .value_kind:     hidden_block_count_y
      - .offset:         32
        .size:           4
        .value_kind:     hidden_block_count_z
      - .offset:         36
        .size:           2
        .value_kind:     hidden_group_size_x
      - .offset:         38
        .size:           2
        .value_kind:     hidden_group_size_y
      - .offset:         40
        .size:           2
        .value_kind:     hidden_group_size_z
      - .offset:         42
        .size:           2
        .value_kind:     hidden_remainder_x
      - .offset:         44
        .size:           2
        .value_kind:     hidden_remainder_y
      - .offset:         46
        .size:           2
        .value_kind:     hidden_remainder_z
      - .offset:         64
        .size:           8
        .value_kind:     hidden_global_offset_x
      - .offset:         72
        .size:           8
        .value_kind:     hidden_global_offset_y
      - .offset:         80
        .size:           8
        .value_kind:     hidden_global_offset_z
      - .offset:         88
        .size:           2
        .value_kind:     hidden_grid_dims
    .group_segment_fixed_size: 0
    .kernarg_segment_align: 8
    .kernarg_segment_size: 280
    .language:       OpenCL C
    .language_version:
      - 2
      - 0
    .max_flat_workgroup_size: 256
    .name:           _Z33head_segmented_warp_reduce_kernelIfhLj256ELj64EENSt9enable_ifIXsr10test_utilsE35device_test_enabled_for_warp_size_vIXT2_EEEvE4typeEPT_PT0_S4_
    .private_segment_fixed_size: 0
    .sgpr_count:     16
    .sgpr_spill_count: 0
    .symbol:         _Z33head_segmented_warp_reduce_kernelIfhLj256ELj64EENSt9enable_ifIXsr10test_utilsE35device_test_enabled_for_warp_size_vIXT2_EEEvE4typeEPT_PT0_S4_.kd
    .uniform_work_group_size: 1
    .uses_dynamic_stack: false
    .vgpr_count:     15
    .vgpr_spill_count: 0
    .wavefront_size: 64
  - .agpr_count:     0
    .args:
      - .address_space:  global
        .offset:         0
        .size:           8
        .value_kind:     global_buffer
      - .address_space:  global
        .offset:         8
        .size:           8
        .value_kind:     global_buffer
      - .address_space:  global
        .offset:         16
        .size:           8
        .value_kind:     global_buffer
      - .offset:         24
        .size:           4
        .value_kind:     hidden_block_count_x
      - .offset:         28
        .size:           4
        .value_kind:     hidden_block_count_y
      - .offset:         32
        .size:           4
        .value_kind:     hidden_block_count_z
      - .offset:         36
        .size:           2
        .value_kind:     hidden_group_size_x
      - .offset:         38
        .size:           2
        .value_kind:     hidden_group_size_y
      - .offset:         40
        .size:           2
        .value_kind:     hidden_group_size_z
      - .offset:         42
        .size:           2
        .value_kind:     hidden_remainder_x
      - .offset:         44
        .size:           2
        .value_kind:     hidden_remainder_y
      - .offset:         46
        .size:           2
        .value_kind:     hidden_remainder_z
      - .offset:         64
        .size:           8
        .value_kind:     hidden_global_offset_x
      - .offset:         72
        .size:           8
        .value_kind:     hidden_global_offset_y
      - .offset:         80
        .size:           8
        .value_kind:     hidden_global_offset_z
      - .offset:         88
        .size:           2
        .value_kind:     hidden_grid_dims
    .group_segment_fixed_size: 0
    .kernarg_segment_align: 8
    .kernarg_segment_size: 280
    .language:       OpenCL C
    .language_version:
      - 2
      - 0
    .max_flat_workgroup_size: 128
    .name:           _Z33head_segmented_warp_reduce_kernelIfhLj128ELj32EENSt9enable_ifIXsr10test_utilsE35device_test_enabled_for_warp_size_vIXT2_EEEvE4typeEPT_PT0_S4_
    .private_segment_fixed_size: 0
    .sgpr_count:     14
    .sgpr_spill_count: 0
    .symbol:         _Z33head_segmented_warp_reduce_kernelIfhLj128ELj32EENSt9enable_ifIXsr10test_utilsE35device_test_enabled_for_warp_size_vIXT2_EEEvE4typeEPT_PT0_S4_.kd
    .uniform_work_group_size: 1
    .uses_dynamic_stack: false
    .vgpr_count:     13
    .vgpr_spill_count: 0
    .wavefront_size: 64
  - .agpr_count:     0
    .args:
      - .address_space:  global
        .offset:         0
        .size:           8
        .value_kind:     global_buffer
      - .address_space:  global
        .offset:         8
        .size:           8
        .value_kind:     global_buffer
      - .address_space:  global
        .offset:         16
        .size:           8
        .value_kind:     global_buffer
      - .offset:         24
        .size:           4
        .value_kind:     hidden_block_count_x
      - .offset:         28
        .size:           4
        .value_kind:     hidden_block_count_y
      - .offset:         32
        .size:           4
        .value_kind:     hidden_block_count_z
      - .offset:         36
        .size:           2
        .value_kind:     hidden_group_size_x
      - .offset:         38
        .size:           2
        .value_kind:     hidden_group_size_y
      - .offset:         40
        .size:           2
        .value_kind:     hidden_group_size_z
      - .offset:         42
        .size:           2
        .value_kind:     hidden_remainder_x
      - .offset:         44
        .size:           2
        .value_kind:     hidden_remainder_y
      - .offset:         46
        .size:           2
        .value_kind:     hidden_remainder_z
      - .offset:         64
        .size:           8
        .value_kind:     hidden_global_offset_x
      - .offset:         72
        .size:           8
        .value_kind:     hidden_global_offset_y
      - .offset:         80
        .size:           8
        .value_kind:     hidden_global_offset_z
      - .offset:         88
        .size:           2
        .value_kind:     hidden_grid_dims
    .group_segment_fixed_size: 0
    .kernarg_segment_align: 8
    .kernarg_segment_size: 280
    .language:       OpenCL C
    .language_version:
      - 2
      - 0
    .max_flat_workgroup_size: 64
    .name:           _Z33head_segmented_warp_reduce_kernelIfhLj64ELj16EENSt9enable_ifIXsr10test_utilsE35device_test_enabled_for_warp_size_vIXT2_EEEvE4typeEPT_PT0_S4_
    .private_segment_fixed_size: 0
    .sgpr_count:     16
    .sgpr_spill_count: 0
    .symbol:         _Z33head_segmented_warp_reduce_kernelIfhLj64ELj16EENSt9enable_ifIXsr10test_utilsE35device_test_enabled_for_warp_size_vIXT2_EEEvE4typeEPT_PT0_S4_.kd
    .uniform_work_group_size: 1
    .uses_dynamic_stack: false
    .vgpr_count:     13
    .vgpr_spill_count: 0
    .wavefront_size: 64
  - .agpr_count:     0
    .args:
      - .address_space:  global
        .offset:         0
        .size:           8
        .value_kind:     global_buffer
      - .address_space:  global
        .offset:         8
        .size:           8
        .value_kind:     global_buffer
      - .address_space:  global
        .offset:         16
        .size:           8
        .value_kind:     global_buffer
      - .offset:         24
        .size:           4
        .value_kind:     hidden_block_count_x
      - .offset:         28
        .size:           4
        .value_kind:     hidden_block_count_y
      - .offset:         32
        .size:           4
        .value_kind:     hidden_block_count_z
      - .offset:         36
        .size:           2
        .value_kind:     hidden_group_size_x
      - .offset:         38
        .size:           2
        .value_kind:     hidden_group_size_y
      - .offset:         40
        .size:           2
        .value_kind:     hidden_group_size_z
      - .offset:         42
        .size:           2
        .value_kind:     hidden_remainder_x
      - .offset:         44
        .size:           2
        .value_kind:     hidden_remainder_y
      - .offset:         46
        .size:           2
        .value_kind:     hidden_remainder_z
      - .offset:         64
        .size:           8
        .value_kind:     hidden_global_offset_x
      - .offset:         72
        .size:           8
        .value_kind:     hidden_global_offset_y
      - .offset:         80
        .size:           8
        .value_kind:     hidden_global_offset_z
      - .offset:         88
        .size:           2
        .value_kind:     hidden_grid_dims
    .group_segment_fixed_size: 0
    .kernarg_segment_align: 8
    .kernarg_segment_size: 280
    .language:       OpenCL C
    .language_version:
      - 2
      - 0
    .max_flat_workgroup_size: 32
    .name:           _Z33head_segmented_warp_reduce_kernelIfhLj32ELj8EENSt9enable_ifIXsr10test_utilsE35device_test_enabled_for_warp_size_vIXT2_EEEvE4typeEPT_PT0_S4_
    .private_segment_fixed_size: 0
    .sgpr_count:     14
    .sgpr_spill_count: 0
    .symbol:         _Z33head_segmented_warp_reduce_kernelIfhLj32ELj8EENSt9enable_ifIXsr10test_utilsE35device_test_enabled_for_warp_size_vIXT2_EEEvE4typeEPT_PT0_S4_.kd
    .uniform_work_group_size: 1
    .uses_dynamic_stack: false
    .vgpr_count:     12
    .vgpr_spill_count: 0
    .wavefront_size: 64
  - .agpr_count:     0
    .args:
      - .address_space:  global
        .offset:         0
        .size:           8
        .value_kind:     global_buffer
      - .address_space:  global
        .offset:         8
        .size:           8
        .value_kind:     global_buffer
      - .address_space:  global
        .offset:         16
        .size:           8
        .value_kind:     global_buffer
      - .offset:         24
        .size:           4
        .value_kind:     hidden_block_count_x
      - .offset:         28
        .size:           4
        .value_kind:     hidden_block_count_y
      - .offset:         32
        .size:           4
        .value_kind:     hidden_block_count_z
      - .offset:         36
        .size:           2
        .value_kind:     hidden_group_size_x
      - .offset:         38
        .size:           2
        .value_kind:     hidden_group_size_y
      - .offset:         40
        .size:           2
        .value_kind:     hidden_group_size_z
      - .offset:         42
        .size:           2
        .value_kind:     hidden_remainder_x
      - .offset:         44
        .size:           2
        .value_kind:     hidden_remainder_y
      - .offset:         46
        .size:           2
        .value_kind:     hidden_remainder_z
      - .offset:         64
        .size:           8
        .value_kind:     hidden_global_offset_x
      - .offset:         72
        .size:           8
        .value_kind:     hidden_global_offset_y
      - .offset:         80
        .size:           8
        .value_kind:     hidden_global_offset_z
      - .offset:         88
        .size:           2
        .value_kind:     hidden_grid_dims
    .group_segment_fixed_size: 0
    .kernarg_segment_align: 8
    .kernarg_segment_size: 280
    .language:       OpenCL C
    .language_version:
      - 2
      - 0
    .max_flat_workgroup_size: 64
    .name:           _Z33head_segmented_warp_reduce_kernelIfhLj64ELj8EENSt9enable_ifIXsr10test_utilsE35device_test_enabled_for_warp_size_vIXT2_EEEvE4typeEPT_PT0_S4_
    .private_segment_fixed_size: 0
    .sgpr_count:     14
    .sgpr_spill_count: 0
    .symbol:         _Z33head_segmented_warp_reduce_kernelIfhLj64ELj8EENSt9enable_ifIXsr10test_utilsE35device_test_enabled_for_warp_size_vIXT2_EEEvE4typeEPT_PT0_S4_.kd
    .uniform_work_group_size: 1
    .uses_dynamic_stack: false
    .vgpr_count:     12
    .vgpr_spill_count: 0
    .wavefront_size: 64
  - .agpr_count:     0
    .args:
      - .address_space:  global
        .offset:         0
        .size:           8
        .value_kind:     global_buffer
      - .address_space:  global
        .offset:         8
        .size:           8
        .value_kind:     global_buffer
      - .address_space:  global
        .offset:         16
        .size:           8
        .value_kind:     global_buffer
      - .offset:         24
        .size:           4
        .value_kind:     hidden_block_count_x
      - .offset:         28
        .size:           4
        .value_kind:     hidden_block_count_y
      - .offset:         32
        .size:           4
        .value_kind:     hidden_block_count_z
      - .offset:         36
        .size:           2
        .value_kind:     hidden_group_size_x
      - .offset:         38
        .size:           2
        .value_kind:     hidden_group_size_y
      - .offset:         40
        .size:           2
        .value_kind:     hidden_group_size_z
      - .offset:         42
        .size:           2
        .value_kind:     hidden_remainder_x
      - .offset:         44
        .size:           2
        .value_kind:     hidden_remainder_y
      - .offset:         46
        .size:           2
        .value_kind:     hidden_remainder_z
      - .offset:         64
        .size:           8
        .value_kind:     hidden_global_offset_x
      - .offset:         72
        .size:           8
        .value_kind:     hidden_global_offset_y
      - .offset:         80
        .size:           8
        .value_kind:     hidden_global_offset_z
      - .offset:         88
        .size:           2
        .value_kind:     hidden_grid_dims
    .group_segment_fixed_size: 0
    .kernarg_segment_align: 8
    .kernarg_segment_size: 280
    .language:       OpenCL C
    .language_version:
      - 2
      - 0
    .max_flat_workgroup_size: 32
    .name:           _Z33head_segmented_warp_reduce_kernelIfhLj32ELj4EENSt9enable_ifIXsr10test_utilsE35device_test_enabled_for_warp_size_vIXT2_EEEvE4typeEPT_PT0_S4_
    .private_segment_fixed_size: 0
    .sgpr_count:     14
    .sgpr_spill_count: 0
    .symbol:         _Z33head_segmented_warp_reduce_kernelIfhLj32ELj4EENSt9enable_ifIXsr10test_utilsE35device_test_enabled_for_warp_size_vIXT2_EEEvE4typeEPT_PT0_S4_.kd
    .uniform_work_group_size: 1
    .uses_dynamic_stack: false
    .vgpr_count:     11
    .vgpr_spill_count: 0
    .wavefront_size: 64
  - .agpr_count:     0
    .args:
      - .address_space:  global
        .offset:         0
        .size:           8
        .value_kind:     global_buffer
      - .address_space:  global
        .offset:         8
        .size:           8
        .value_kind:     global_buffer
      - .address_space:  global
        .offset:         16
        .size:           8
        .value_kind:     global_buffer
      - .offset:         24
        .size:           4
        .value_kind:     hidden_block_count_x
      - .offset:         28
        .size:           4
        .value_kind:     hidden_block_count_y
      - .offset:         32
        .size:           4
        .value_kind:     hidden_block_count_z
      - .offset:         36
        .size:           2
        .value_kind:     hidden_group_size_x
      - .offset:         38
        .size:           2
        .value_kind:     hidden_group_size_y
      - .offset:         40
        .size:           2
        .value_kind:     hidden_group_size_z
      - .offset:         42
        .size:           2
        .value_kind:     hidden_remainder_x
      - .offset:         44
        .size:           2
        .value_kind:     hidden_remainder_y
      - .offset:         46
        .size:           2
        .value_kind:     hidden_remainder_z
      - .offset:         64
        .size:           8
        .value_kind:     hidden_global_offset_x
      - .offset:         72
        .size:           8
        .value_kind:     hidden_global_offset_y
      - .offset:         80
        .size:           8
        .value_kind:     hidden_global_offset_z
      - .offset:         88
        .size:           2
        .value_kind:     hidden_grid_dims
    .group_segment_fixed_size: 0
    .kernarg_segment_align: 8
    .kernarg_segment_size: 280
    .language:       OpenCL C
    .language_version:
      - 2
      - 0
    .max_flat_workgroup_size: 64
    .name:           _Z33head_segmented_warp_reduce_kernelIfhLj64ELj4EENSt9enable_ifIXsr10test_utilsE35device_test_enabled_for_warp_size_vIXT2_EEEvE4typeEPT_PT0_S4_
    .private_segment_fixed_size: 0
    .sgpr_count:     14
    .sgpr_spill_count: 0
    .symbol:         _Z33head_segmented_warp_reduce_kernelIfhLj64ELj4EENSt9enable_ifIXsr10test_utilsE35device_test_enabled_for_warp_size_vIXT2_EEEvE4typeEPT_PT0_S4_.kd
    .uniform_work_group_size: 1
    .uses_dynamic_stack: false
    .vgpr_count:     11
    .vgpr_spill_count: 0
    .wavefront_size: 64
  - .agpr_count:     0
    .args:
      - .address_space:  global
        .offset:         0
        .size:           8
        .value_kind:     global_buffer
      - .address_space:  global
        .offset:         8
        .size:           8
        .value_kind:     global_buffer
      - .address_space:  global
        .offset:         16
        .size:           8
        .value_kind:     global_buffer
      - .offset:         24
        .size:           4
        .value_kind:     hidden_block_count_x
      - .offset:         28
        .size:           4
        .value_kind:     hidden_block_count_y
      - .offset:         32
        .size:           4
        .value_kind:     hidden_block_count_z
      - .offset:         36
        .size:           2
        .value_kind:     hidden_group_size_x
      - .offset:         38
        .size:           2
        .value_kind:     hidden_group_size_y
      - .offset:         40
        .size:           2
        .value_kind:     hidden_group_size_z
      - .offset:         42
        .size:           2
        .value_kind:     hidden_remainder_x
      - .offset:         44
        .size:           2
        .value_kind:     hidden_remainder_y
      - .offset:         46
        .size:           2
        .value_kind:     hidden_remainder_z
      - .offset:         64
        .size:           8
        .value_kind:     hidden_global_offset_x
      - .offset:         72
        .size:           8
        .value_kind:     hidden_global_offset_y
      - .offset:         80
        .size:           8
        .value_kind:     hidden_global_offset_z
      - .offset:         88
        .size:           2
        .value_kind:     hidden_grid_dims
    .group_segment_fixed_size: 0
    .kernarg_segment_align: 8
    .kernarg_segment_size: 280
    .language:       OpenCL C
    .language_version:
      - 2
      - 0
    .max_flat_workgroup_size: 32
    .name:           _Z33head_segmented_warp_reduce_kernelIfhLj32ELj2EENSt9enable_ifIXsr10test_utilsE35device_test_enabled_for_warp_size_vIXT2_EEEvE4typeEPT_PT0_S4_
    .private_segment_fixed_size: 0
    .sgpr_count:     14
    .sgpr_spill_count: 0
    .symbol:         _Z33head_segmented_warp_reduce_kernelIfhLj32ELj2EENSt9enable_ifIXsr10test_utilsE35device_test_enabled_for_warp_size_vIXT2_EEEvE4typeEPT_PT0_S4_.kd
    .uniform_work_group_size: 1
    .uses_dynamic_stack: false
    .vgpr_count:     10
    .vgpr_spill_count: 0
    .wavefront_size: 64
  - .agpr_count:     0
    .args:
      - .address_space:  global
        .offset:         0
        .size:           8
        .value_kind:     global_buffer
      - .address_space:  global
        .offset:         8
        .size:           8
        .value_kind:     global_buffer
      - .address_space:  global
        .offset:         16
        .size:           8
        .value_kind:     global_buffer
      - .offset:         24
        .size:           4
        .value_kind:     hidden_block_count_x
      - .offset:         28
        .size:           4
        .value_kind:     hidden_block_count_y
      - .offset:         32
        .size:           4
        .value_kind:     hidden_block_count_z
      - .offset:         36
        .size:           2
        .value_kind:     hidden_group_size_x
      - .offset:         38
        .size:           2
        .value_kind:     hidden_group_size_y
      - .offset:         40
        .size:           2
        .value_kind:     hidden_group_size_z
      - .offset:         42
        .size:           2
        .value_kind:     hidden_remainder_x
      - .offset:         44
        .size:           2
        .value_kind:     hidden_remainder_y
      - .offset:         46
        .size:           2
        .value_kind:     hidden_remainder_z
      - .offset:         64
        .size:           8
        .value_kind:     hidden_global_offset_x
      - .offset:         72
        .size:           8
        .value_kind:     hidden_global_offset_y
      - .offset:         80
        .size:           8
        .value_kind:     hidden_global_offset_z
      - .offset:         88
        .size:           2
        .value_kind:     hidden_grid_dims
    .group_segment_fixed_size: 0
    .kernarg_segment_align: 8
    .kernarg_segment_size: 280
    .language:       OpenCL C
    .language_version:
      - 2
      - 0
    .max_flat_workgroup_size: 64
    .name:           _Z33head_segmented_warp_reduce_kernelIfhLj64ELj2EENSt9enable_ifIXsr10test_utilsE35device_test_enabled_for_warp_size_vIXT2_EEEvE4typeEPT_PT0_S4_
    .private_segment_fixed_size: 0
    .sgpr_count:     14
    .sgpr_spill_count: 0
    .symbol:         _Z33head_segmented_warp_reduce_kernelIfhLj64ELj2EENSt9enable_ifIXsr10test_utilsE35device_test_enabled_for_warp_size_vIXT2_EEEvE4typeEPT_PT0_S4_.kd
    .uniform_work_group_size: 1
    .uses_dynamic_stack: false
    .vgpr_count:     10
    .vgpr_spill_count: 0
    .wavefront_size: 64
  - .agpr_count:     0
    .args:
      - .address_space:  global
        .offset:         0
        .size:           8
        .value_kind:     global_buffer
      - .address_space:  global
        .offset:         8
        .size:           8
        .value_kind:     global_buffer
      - .address_space:  global
        .offset:         16
        .size:           8
        .value_kind:     global_buffer
      - .offset:         24
        .size:           4
        .value_kind:     hidden_block_count_x
      - .offset:         28
        .size:           4
        .value_kind:     hidden_block_count_y
      - .offset:         32
        .size:           4
        .value_kind:     hidden_block_count_z
      - .offset:         36
        .size:           2
        .value_kind:     hidden_group_size_x
      - .offset:         38
        .size:           2
        .value_kind:     hidden_group_size_y
      - .offset:         40
        .size:           2
        .value_kind:     hidden_group_size_z
      - .offset:         42
        .size:           2
        .value_kind:     hidden_remainder_x
      - .offset:         44
        .size:           2
        .value_kind:     hidden_remainder_y
      - .offset:         46
        .size:           2
        .value_kind:     hidden_remainder_z
      - .offset:         64
        .size:           8
        .value_kind:     hidden_global_offset_x
      - .offset:         72
        .size:           8
        .value_kind:     hidden_global_offset_y
      - .offset:         80
        .size:           8
        .value_kind:     hidden_global_offset_z
      - .offset:         88
        .size:           2
        .value_kind:     hidden_grid_dims
    .group_segment_fixed_size: 0
    .kernarg_segment_align: 8
    .kernarg_segment_size: 280
    .language:       OpenCL C
    .language_version:
      - 2
      - 0
    .max_flat_workgroup_size: 32
    .name:           _Z33head_segmented_warp_reduce_kernelIfhLj32ELj1EENSt9enable_ifIXsr10test_utilsE35device_test_enabled_for_warp_size_vIXT2_EEEvE4typeEPT_PT0_S4_
    .private_segment_fixed_size: 0
    .sgpr_count:     12
    .sgpr_spill_count: 0
    .symbol:         _Z33head_segmented_warp_reduce_kernelIfhLj32ELj1EENSt9enable_ifIXsr10test_utilsE35device_test_enabled_for_warp_size_vIXT2_EEEvE4typeEPT_PT0_S4_.kd
    .uniform_work_group_size: 1
    .uses_dynamic_stack: false
    .vgpr_count:     4
    .vgpr_spill_count: 0
    .wavefront_size: 64
  - .agpr_count:     0
    .args:
      - .address_space:  global
        .offset:         0
        .size:           8
        .value_kind:     global_buffer
      - .address_space:  global
        .offset:         8
        .size:           8
        .value_kind:     global_buffer
      - .address_space:  global
        .offset:         16
        .size:           8
        .value_kind:     global_buffer
      - .offset:         24
        .size:           4
        .value_kind:     hidden_block_count_x
      - .offset:         28
        .size:           4
        .value_kind:     hidden_block_count_y
      - .offset:         32
        .size:           4
        .value_kind:     hidden_block_count_z
      - .offset:         36
        .size:           2
        .value_kind:     hidden_group_size_x
      - .offset:         38
        .size:           2
        .value_kind:     hidden_group_size_y
      - .offset:         40
        .size:           2
        .value_kind:     hidden_group_size_z
      - .offset:         42
        .size:           2
        .value_kind:     hidden_remainder_x
      - .offset:         44
        .size:           2
        .value_kind:     hidden_remainder_y
      - .offset:         46
        .size:           2
        .value_kind:     hidden_remainder_z
      - .offset:         64
        .size:           8
        .value_kind:     hidden_global_offset_x
      - .offset:         72
        .size:           8
        .value_kind:     hidden_global_offset_y
      - .offset:         80
        .size:           8
        .value_kind:     hidden_global_offset_z
      - .offset:         88
        .size:           2
        .value_kind:     hidden_grid_dims
    .group_segment_fixed_size: 0
    .kernarg_segment_align: 8
    .kernarg_segment_size: 280
    .language:       OpenCL C
    .language_version:
      - 2
      - 0
    .max_flat_workgroup_size: 64
    .name:           _Z33head_segmented_warp_reduce_kernelIfhLj64ELj1EENSt9enable_ifIXsr10test_utilsE35device_test_enabled_for_warp_size_vIXT2_EEEvE4typeEPT_PT0_S4_
    .private_segment_fixed_size: 0
    .sgpr_count:     12
    .sgpr_spill_count: 0
    .symbol:         _Z33head_segmented_warp_reduce_kernelIfhLj64ELj1EENSt9enable_ifIXsr10test_utilsE35device_test_enabled_for_warp_size_vIXT2_EEEvE4typeEPT_PT0_S4_.kd
    .uniform_work_group_size: 1
    .uses_dynamic_stack: false
    .vgpr_count:     4
    .vgpr_spill_count: 0
    .wavefront_size: 64
  - .agpr_count:     0
    .args:
      - .address_space:  global
        .offset:         0
        .size:           8
        .value_kind:     global_buffer
      - .address_space:  global
        .offset:         8
        .size:           8
        .value_kind:     global_buffer
      - .address_space:  global
        .offset:         16
        .size:           8
        .value_kind:     global_buffer
      - .offset:         24
        .size:           4
        .value_kind:     hidden_block_count_x
      - .offset:         28
        .size:           4
        .value_kind:     hidden_block_count_y
      - .offset:         32
        .size:           4
        .value_kind:     hidden_block_count_z
      - .offset:         36
        .size:           2
        .value_kind:     hidden_group_size_x
      - .offset:         38
        .size:           2
        .value_kind:     hidden_group_size_y
      - .offset:         40
        .size:           2
        .value_kind:     hidden_group_size_z
      - .offset:         42
        .size:           2
        .value_kind:     hidden_remainder_x
      - .offset:         44
        .size:           2
        .value_kind:     hidden_remainder_y
      - .offset:         46
        .size:           2
        .value_kind:     hidden_remainder_z
      - .offset:         64
        .size:           8
        .value_kind:     hidden_global_offset_x
      - .offset:         72
        .size:           8
        .value_kind:     hidden_global_offset_y
      - .offset:         80
        .size:           8
        .value_kind:     hidden_global_offset_z
      - .offset:         88
        .size:           2
        .value_kind:     hidden_grid_dims
    .group_segment_fixed_size: 0
    .kernarg_segment_align: 8
    .kernarg_segment_size: 280
    .language:       OpenCL C
    .language_version:
      - 2
      - 0
    .max_flat_workgroup_size: 256
    .name:           _Z33head_segmented_warp_reduce_kernelIihLj256ELj64EENSt9enable_ifIXsr10test_utilsE35device_test_enabled_for_warp_size_vIXT2_EEEvE4typeEPT_PT0_S4_
    .private_segment_fixed_size: 0
    .sgpr_count:     16
    .sgpr_spill_count: 0
    .symbol:         _Z33head_segmented_warp_reduce_kernelIihLj256ELj64EENSt9enable_ifIXsr10test_utilsE35device_test_enabled_for_warp_size_vIXT2_EEEvE4typeEPT_PT0_S4_.kd
    .uniform_work_group_size: 1
    .uses_dynamic_stack: false
    .vgpr_count:     15
    .vgpr_spill_count: 0
    .wavefront_size: 64
  - .agpr_count:     0
    .args:
      - .address_space:  global
        .offset:         0
        .size:           8
        .value_kind:     global_buffer
      - .address_space:  global
        .offset:         8
        .size:           8
        .value_kind:     global_buffer
      - .address_space:  global
        .offset:         16
        .size:           8
        .value_kind:     global_buffer
      - .offset:         24
        .size:           4
        .value_kind:     hidden_block_count_x
      - .offset:         28
        .size:           4
        .value_kind:     hidden_block_count_y
      - .offset:         32
        .size:           4
        .value_kind:     hidden_block_count_z
      - .offset:         36
        .size:           2
        .value_kind:     hidden_group_size_x
      - .offset:         38
        .size:           2
        .value_kind:     hidden_group_size_y
      - .offset:         40
        .size:           2
        .value_kind:     hidden_group_size_z
      - .offset:         42
        .size:           2
        .value_kind:     hidden_remainder_x
      - .offset:         44
        .size:           2
        .value_kind:     hidden_remainder_y
      - .offset:         46
        .size:           2
        .value_kind:     hidden_remainder_z
      - .offset:         64
        .size:           8
        .value_kind:     hidden_global_offset_x
      - .offset:         72
        .size:           8
        .value_kind:     hidden_global_offset_y
      - .offset:         80
        .size:           8
        .value_kind:     hidden_global_offset_z
      - .offset:         88
        .size:           2
        .value_kind:     hidden_grid_dims
    .group_segment_fixed_size: 0
    .kernarg_segment_align: 8
    .kernarg_segment_size: 280
    .language:       OpenCL C
    .language_version:
      - 2
      - 0
    .max_flat_workgroup_size: 128
    .name:           _Z33head_segmented_warp_reduce_kernelIihLj128ELj32EENSt9enable_ifIXsr10test_utilsE35device_test_enabled_for_warp_size_vIXT2_EEEvE4typeEPT_PT0_S4_
    .private_segment_fixed_size: 0
    .sgpr_count:     16
    .sgpr_spill_count: 0
    .symbol:         _Z33head_segmented_warp_reduce_kernelIihLj128ELj32EENSt9enable_ifIXsr10test_utilsE35device_test_enabled_for_warp_size_vIXT2_EEEvE4typeEPT_PT0_S4_.kd
    .uniform_work_group_size: 1
    .uses_dynamic_stack: false
    .vgpr_count:     14
    .vgpr_spill_count: 0
    .wavefront_size: 64
  - .agpr_count:     0
    .args:
      - .address_space:  global
        .offset:         0
        .size:           8
        .value_kind:     global_buffer
      - .address_space:  global
        .offset:         8
        .size:           8
        .value_kind:     global_buffer
      - .address_space:  global
        .offset:         16
        .size:           8
        .value_kind:     global_buffer
      - .offset:         24
        .size:           4
        .value_kind:     hidden_block_count_x
      - .offset:         28
        .size:           4
        .value_kind:     hidden_block_count_y
      - .offset:         32
        .size:           4
        .value_kind:     hidden_block_count_z
      - .offset:         36
        .size:           2
        .value_kind:     hidden_group_size_x
      - .offset:         38
        .size:           2
        .value_kind:     hidden_group_size_y
      - .offset:         40
        .size:           2
        .value_kind:     hidden_group_size_z
      - .offset:         42
        .size:           2
        .value_kind:     hidden_remainder_x
      - .offset:         44
        .size:           2
        .value_kind:     hidden_remainder_y
      - .offset:         46
        .size:           2
        .value_kind:     hidden_remainder_z
      - .offset:         64
        .size:           8
        .value_kind:     hidden_global_offset_x
      - .offset:         72
        .size:           8
        .value_kind:     hidden_global_offset_y
      - .offset:         80
        .size:           8
        .value_kind:     hidden_global_offset_z
      - .offset:         88
        .size:           2
        .value_kind:     hidden_grid_dims
    .group_segment_fixed_size: 0
    .kernarg_segment_align: 8
    .kernarg_segment_size: 280
    .language:       OpenCL C
    .language_version:
      - 2
      - 0
    .max_flat_workgroup_size: 64
    .name:           _Z33head_segmented_warp_reduce_kernelIihLj64ELj16EENSt9enable_ifIXsr10test_utilsE35device_test_enabled_for_warp_size_vIXT2_EEEvE4typeEPT_PT0_S4_
    .private_segment_fixed_size: 0
    .sgpr_count:     16
    .sgpr_spill_count: 0
    .symbol:         _Z33head_segmented_warp_reduce_kernelIihLj64ELj16EENSt9enable_ifIXsr10test_utilsE35device_test_enabled_for_warp_size_vIXT2_EEEvE4typeEPT_PT0_S4_.kd
    .uniform_work_group_size: 1
    .uses_dynamic_stack: false
    .vgpr_count:     13
    .vgpr_spill_count: 0
    .wavefront_size: 64
  - .agpr_count:     0
    .args:
      - .address_space:  global
        .offset:         0
        .size:           8
        .value_kind:     global_buffer
      - .address_space:  global
        .offset:         8
        .size:           8
        .value_kind:     global_buffer
      - .address_space:  global
        .offset:         16
        .size:           8
        .value_kind:     global_buffer
      - .offset:         24
        .size:           4
        .value_kind:     hidden_block_count_x
      - .offset:         28
        .size:           4
        .value_kind:     hidden_block_count_y
      - .offset:         32
        .size:           4
        .value_kind:     hidden_block_count_z
      - .offset:         36
        .size:           2
        .value_kind:     hidden_group_size_x
      - .offset:         38
        .size:           2
        .value_kind:     hidden_group_size_y
      - .offset:         40
        .size:           2
        .value_kind:     hidden_group_size_z
      - .offset:         42
        .size:           2
        .value_kind:     hidden_remainder_x
      - .offset:         44
        .size:           2
        .value_kind:     hidden_remainder_y
      - .offset:         46
        .size:           2
        .value_kind:     hidden_remainder_z
      - .offset:         64
        .size:           8
        .value_kind:     hidden_global_offset_x
      - .offset:         72
        .size:           8
        .value_kind:     hidden_global_offset_y
      - .offset:         80
        .size:           8
        .value_kind:     hidden_global_offset_z
      - .offset:         88
        .size:           2
        .value_kind:     hidden_grid_dims
    .group_segment_fixed_size: 0
    .kernarg_segment_align: 8
    .kernarg_segment_size: 280
    .language:       OpenCL C
    .language_version:
      - 2
      - 0
    .max_flat_workgroup_size: 32
    .name:           _Z33head_segmented_warp_reduce_kernelIihLj32ELj8EENSt9enable_ifIXsr10test_utilsE35device_test_enabled_for_warp_size_vIXT2_EEEvE4typeEPT_PT0_S4_
    .private_segment_fixed_size: 0
    .sgpr_count:     14
    .sgpr_spill_count: 0
    .symbol:         _Z33head_segmented_warp_reduce_kernelIihLj32ELj8EENSt9enable_ifIXsr10test_utilsE35device_test_enabled_for_warp_size_vIXT2_EEEvE4typeEPT_PT0_S4_.kd
    .uniform_work_group_size: 1
    .uses_dynamic_stack: false
    .vgpr_count:     12
    .vgpr_spill_count: 0
    .wavefront_size: 64
  - .agpr_count:     0
    .args:
      - .address_space:  global
        .offset:         0
        .size:           8
        .value_kind:     global_buffer
      - .address_space:  global
        .offset:         8
        .size:           8
        .value_kind:     global_buffer
      - .address_space:  global
        .offset:         16
        .size:           8
        .value_kind:     global_buffer
      - .offset:         24
        .size:           4
        .value_kind:     hidden_block_count_x
      - .offset:         28
        .size:           4
        .value_kind:     hidden_block_count_y
      - .offset:         32
        .size:           4
        .value_kind:     hidden_block_count_z
      - .offset:         36
        .size:           2
        .value_kind:     hidden_group_size_x
      - .offset:         38
        .size:           2
        .value_kind:     hidden_group_size_y
      - .offset:         40
        .size:           2
        .value_kind:     hidden_group_size_z
      - .offset:         42
        .size:           2
        .value_kind:     hidden_remainder_x
      - .offset:         44
        .size:           2
        .value_kind:     hidden_remainder_y
      - .offset:         46
        .size:           2
        .value_kind:     hidden_remainder_z
      - .offset:         64
        .size:           8
        .value_kind:     hidden_global_offset_x
      - .offset:         72
        .size:           8
        .value_kind:     hidden_global_offset_y
      - .offset:         80
        .size:           8
        .value_kind:     hidden_global_offset_z
      - .offset:         88
        .size:           2
        .value_kind:     hidden_grid_dims
    .group_segment_fixed_size: 0
    .kernarg_segment_align: 8
    .kernarg_segment_size: 280
    .language:       OpenCL C
    .language_version:
      - 2
      - 0
    .max_flat_workgroup_size: 64
    .name:           _Z33head_segmented_warp_reduce_kernelIihLj64ELj8EENSt9enable_ifIXsr10test_utilsE35device_test_enabled_for_warp_size_vIXT2_EEEvE4typeEPT_PT0_S4_
    .private_segment_fixed_size: 0
    .sgpr_count:     14
    .sgpr_spill_count: 0
    .symbol:         _Z33head_segmented_warp_reduce_kernelIihLj64ELj8EENSt9enable_ifIXsr10test_utilsE35device_test_enabled_for_warp_size_vIXT2_EEEvE4typeEPT_PT0_S4_.kd
    .uniform_work_group_size: 1
    .uses_dynamic_stack: false
    .vgpr_count:     12
    .vgpr_spill_count: 0
    .wavefront_size: 64
  - .agpr_count:     0
    .args:
      - .address_space:  global
        .offset:         0
        .size:           8
        .value_kind:     global_buffer
      - .address_space:  global
        .offset:         8
        .size:           8
        .value_kind:     global_buffer
      - .address_space:  global
        .offset:         16
        .size:           8
        .value_kind:     global_buffer
      - .offset:         24
        .size:           4
        .value_kind:     hidden_block_count_x
      - .offset:         28
        .size:           4
        .value_kind:     hidden_block_count_y
      - .offset:         32
        .size:           4
        .value_kind:     hidden_block_count_z
      - .offset:         36
        .size:           2
        .value_kind:     hidden_group_size_x
      - .offset:         38
        .size:           2
        .value_kind:     hidden_group_size_y
      - .offset:         40
        .size:           2
        .value_kind:     hidden_group_size_z
      - .offset:         42
        .size:           2
        .value_kind:     hidden_remainder_x
      - .offset:         44
        .size:           2
        .value_kind:     hidden_remainder_y
      - .offset:         46
        .size:           2
        .value_kind:     hidden_remainder_z
      - .offset:         64
        .size:           8
        .value_kind:     hidden_global_offset_x
      - .offset:         72
        .size:           8
        .value_kind:     hidden_global_offset_y
      - .offset:         80
        .size:           8
        .value_kind:     hidden_global_offset_z
      - .offset:         88
        .size:           2
        .value_kind:     hidden_grid_dims
    .group_segment_fixed_size: 0
    .kernarg_segment_align: 8
    .kernarg_segment_size: 280
    .language:       OpenCL C
    .language_version:
      - 2
      - 0
    .max_flat_workgroup_size: 32
    .name:           _Z33head_segmented_warp_reduce_kernelIihLj32ELj4EENSt9enable_ifIXsr10test_utilsE35device_test_enabled_for_warp_size_vIXT2_EEEvE4typeEPT_PT0_S4_
    .private_segment_fixed_size: 0
    .sgpr_count:     14
    .sgpr_spill_count: 0
    .symbol:         _Z33head_segmented_warp_reduce_kernelIihLj32ELj4EENSt9enable_ifIXsr10test_utilsE35device_test_enabled_for_warp_size_vIXT2_EEEvE4typeEPT_PT0_S4_.kd
    .uniform_work_group_size: 1
    .uses_dynamic_stack: false
    .vgpr_count:     11
    .vgpr_spill_count: 0
    .wavefront_size: 64
  - .agpr_count:     0
    .args:
      - .address_space:  global
        .offset:         0
        .size:           8
        .value_kind:     global_buffer
      - .address_space:  global
        .offset:         8
        .size:           8
        .value_kind:     global_buffer
      - .address_space:  global
        .offset:         16
        .size:           8
        .value_kind:     global_buffer
      - .offset:         24
        .size:           4
        .value_kind:     hidden_block_count_x
      - .offset:         28
        .size:           4
        .value_kind:     hidden_block_count_y
      - .offset:         32
        .size:           4
        .value_kind:     hidden_block_count_z
      - .offset:         36
        .size:           2
        .value_kind:     hidden_group_size_x
      - .offset:         38
        .size:           2
        .value_kind:     hidden_group_size_y
      - .offset:         40
        .size:           2
        .value_kind:     hidden_group_size_z
      - .offset:         42
        .size:           2
        .value_kind:     hidden_remainder_x
      - .offset:         44
        .size:           2
        .value_kind:     hidden_remainder_y
      - .offset:         46
        .size:           2
        .value_kind:     hidden_remainder_z
      - .offset:         64
        .size:           8
        .value_kind:     hidden_global_offset_x
      - .offset:         72
        .size:           8
        .value_kind:     hidden_global_offset_y
      - .offset:         80
        .size:           8
        .value_kind:     hidden_global_offset_z
      - .offset:         88
        .size:           2
        .value_kind:     hidden_grid_dims
    .group_segment_fixed_size: 0
    .kernarg_segment_align: 8
    .kernarg_segment_size: 280
    .language:       OpenCL C
    .language_version:
      - 2
      - 0
    .max_flat_workgroup_size: 64
    .name:           _Z33head_segmented_warp_reduce_kernelIihLj64ELj4EENSt9enable_ifIXsr10test_utilsE35device_test_enabled_for_warp_size_vIXT2_EEEvE4typeEPT_PT0_S4_
    .private_segment_fixed_size: 0
    .sgpr_count:     14
    .sgpr_spill_count: 0
    .symbol:         _Z33head_segmented_warp_reduce_kernelIihLj64ELj4EENSt9enable_ifIXsr10test_utilsE35device_test_enabled_for_warp_size_vIXT2_EEEvE4typeEPT_PT0_S4_.kd
    .uniform_work_group_size: 1
    .uses_dynamic_stack: false
    .vgpr_count:     11
    .vgpr_spill_count: 0
    .wavefront_size: 64
  - .agpr_count:     0
    .args:
      - .address_space:  global
        .offset:         0
        .size:           8
        .value_kind:     global_buffer
      - .address_space:  global
        .offset:         8
        .size:           8
        .value_kind:     global_buffer
      - .address_space:  global
        .offset:         16
        .size:           8
        .value_kind:     global_buffer
      - .offset:         24
        .size:           4
        .value_kind:     hidden_block_count_x
      - .offset:         28
        .size:           4
        .value_kind:     hidden_block_count_y
      - .offset:         32
        .size:           4
        .value_kind:     hidden_block_count_z
      - .offset:         36
        .size:           2
        .value_kind:     hidden_group_size_x
      - .offset:         38
        .size:           2
        .value_kind:     hidden_group_size_y
      - .offset:         40
        .size:           2
        .value_kind:     hidden_group_size_z
      - .offset:         42
        .size:           2
        .value_kind:     hidden_remainder_x
      - .offset:         44
        .size:           2
        .value_kind:     hidden_remainder_y
      - .offset:         46
        .size:           2
        .value_kind:     hidden_remainder_z
      - .offset:         64
        .size:           8
        .value_kind:     hidden_global_offset_x
      - .offset:         72
        .size:           8
        .value_kind:     hidden_global_offset_y
      - .offset:         80
        .size:           8
        .value_kind:     hidden_global_offset_z
      - .offset:         88
        .size:           2
        .value_kind:     hidden_grid_dims
    .group_segment_fixed_size: 0
    .kernarg_segment_align: 8
    .kernarg_segment_size: 280
    .language:       OpenCL C
    .language_version:
      - 2
      - 0
    .max_flat_workgroup_size: 32
    .name:           _Z33head_segmented_warp_reduce_kernelIihLj32ELj2EENSt9enable_ifIXsr10test_utilsE35device_test_enabled_for_warp_size_vIXT2_EEEvE4typeEPT_PT0_S4_
    .private_segment_fixed_size: 0
    .sgpr_count:     14
    .sgpr_spill_count: 0
    .symbol:         _Z33head_segmented_warp_reduce_kernelIihLj32ELj2EENSt9enable_ifIXsr10test_utilsE35device_test_enabled_for_warp_size_vIXT2_EEEvE4typeEPT_PT0_S4_.kd
    .uniform_work_group_size: 1
    .uses_dynamic_stack: false
    .vgpr_count:     10
    .vgpr_spill_count: 0
    .wavefront_size: 64
  - .agpr_count:     0
    .args:
      - .address_space:  global
        .offset:         0
        .size:           8
        .value_kind:     global_buffer
      - .address_space:  global
        .offset:         8
        .size:           8
        .value_kind:     global_buffer
      - .address_space:  global
        .offset:         16
        .size:           8
        .value_kind:     global_buffer
      - .offset:         24
        .size:           4
        .value_kind:     hidden_block_count_x
      - .offset:         28
        .size:           4
        .value_kind:     hidden_block_count_y
      - .offset:         32
        .size:           4
        .value_kind:     hidden_block_count_z
      - .offset:         36
        .size:           2
        .value_kind:     hidden_group_size_x
      - .offset:         38
        .size:           2
        .value_kind:     hidden_group_size_y
      - .offset:         40
        .size:           2
        .value_kind:     hidden_group_size_z
      - .offset:         42
        .size:           2
        .value_kind:     hidden_remainder_x
      - .offset:         44
        .size:           2
        .value_kind:     hidden_remainder_y
      - .offset:         46
        .size:           2
        .value_kind:     hidden_remainder_z
      - .offset:         64
        .size:           8
        .value_kind:     hidden_global_offset_x
      - .offset:         72
        .size:           8
        .value_kind:     hidden_global_offset_y
      - .offset:         80
        .size:           8
        .value_kind:     hidden_global_offset_z
      - .offset:         88
        .size:           2
        .value_kind:     hidden_grid_dims
    .group_segment_fixed_size: 0
    .kernarg_segment_align: 8
    .kernarg_segment_size: 280
    .language:       OpenCL C
    .language_version:
      - 2
      - 0
    .max_flat_workgroup_size: 64
    .name:           _Z33head_segmented_warp_reduce_kernelIihLj64ELj2EENSt9enable_ifIXsr10test_utilsE35device_test_enabled_for_warp_size_vIXT2_EEEvE4typeEPT_PT0_S4_
    .private_segment_fixed_size: 0
    .sgpr_count:     14
    .sgpr_spill_count: 0
    .symbol:         _Z33head_segmented_warp_reduce_kernelIihLj64ELj2EENSt9enable_ifIXsr10test_utilsE35device_test_enabled_for_warp_size_vIXT2_EEEvE4typeEPT_PT0_S4_.kd
    .uniform_work_group_size: 1
    .uses_dynamic_stack: false
    .vgpr_count:     10
    .vgpr_spill_count: 0
    .wavefront_size: 64
  - .agpr_count:     0
    .args:
      - .address_space:  global
        .offset:         0
        .size:           8
        .value_kind:     global_buffer
      - .address_space:  global
        .offset:         8
        .size:           8
        .value_kind:     global_buffer
      - .address_space:  global
        .offset:         16
        .size:           8
        .value_kind:     global_buffer
      - .offset:         24
        .size:           4
        .value_kind:     hidden_block_count_x
      - .offset:         28
        .size:           4
        .value_kind:     hidden_block_count_y
      - .offset:         32
        .size:           4
        .value_kind:     hidden_block_count_z
      - .offset:         36
        .size:           2
        .value_kind:     hidden_group_size_x
      - .offset:         38
        .size:           2
        .value_kind:     hidden_group_size_y
      - .offset:         40
        .size:           2
        .value_kind:     hidden_group_size_z
      - .offset:         42
        .size:           2
        .value_kind:     hidden_remainder_x
      - .offset:         44
        .size:           2
        .value_kind:     hidden_remainder_y
      - .offset:         46
        .size:           2
        .value_kind:     hidden_remainder_z
      - .offset:         64
        .size:           8
        .value_kind:     hidden_global_offset_x
      - .offset:         72
        .size:           8
        .value_kind:     hidden_global_offset_y
      - .offset:         80
        .size:           8
        .value_kind:     hidden_global_offset_z
      - .offset:         88
        .size:           2
        .value_kind:     hidden_grid_dims
    .group_segment_fixed_size: 0
    .kernarg_segment_align: 8
    .kernarg_segment_size: 280
    .language:       OpenCL C
    .language_version:
      - 2
      - 0
    .max_flat_workgroup_size: 32
    .name:           _Z33head_segmented_warp_reduce_kernelIihLj32ELj1EENSt9enable_ifIXsr10test_utilsE35device_test_enabled_for_warp_size_vIXT2_EEEvE4typeEPT_PT0_S4_
    .private_segment_fixed_size: 0
    .sgpr_count:     12
    .sgpr_spill_count: 0
    .symbol:         _Z33head_segmented_warp_reduce_kernelIihLj32ELj1EENSt9enable_ifIXsr10test_utilsE35device_test_enabled_for_warp_size_vIXT2_EEEvE4typeEPT_PT0_S4_.kd
    .uniform_work_group_size: 1
    .uses_dynamic_stack: false
    .vgpr_count:     4
    .vgpr_spill_count: 0
    .wavefront_size: 64
  - .agpr_count:     0
    .args:
      - .address_space:  global
        .offset:         0
        .size:           8
        .value_kind:     global_buffer
      - .address_space:  global
        .offset:         8
        .size:           8
        .value_kind:     global_buffer
      - .address_space:  global
        .offset:         16
        .size:           8
        .value_kind:     global_buffer
      - .offset:         24
        .size:           4
        .value_kind:     hidden_block_count_x
      - .offset:         28
        .size:           4
        .value_kind:     hidden_block_count_y
      - .offset:         32
        .size:           4
        .value_kind:     hidden_block_count_z
      - .offset:         36
        .size:           2
        .value_kind:     hidden_group_size_x
      - .offset:         38
        .size:           2
        .value_kind:     hidden_group_size_y
      - .offset:         40
        .size:           2
        .value_kind:     hidden_group_size_z
      - .offset:         42
        .size:           2
        .value_kind:     hidden_remainder_x
      - .offset:         44
        .size:           2
        .value_kind:     hidden_remainder_y
      - .offset:         46
        .size:           2
        .value_kind:     hidden_remainder_z
      - .offset:         64
        .size:           8
        .value_kind:     hidden_global_offset_x
      - .offset:         72
        .size:           8
        .value_kind:     hidden_global_offset_y
      - .offset:         80
        .size:           8
        .value_kind:     hidden_global_offset_z
      - .offset:         88
        .size:           2
        .value_kind:     hidden_grid_dims
    .group_segment_fixed_size: 0
    .kernarg_segment_align: 8
    .kernarg_segment_size: 280
    .language:       OpenCL C
    .language_version:
      - 2
      - 0
    .max_flat_workgroup_size: 64
    .name:           _Z33head_segmented_warp_reduce_kernelIihLj64ELj1EENSt9enable_ifIXsr10test_utilsE35device_test_enabled_for_warp_size_vIXT2_EEEvE4typeEPT_PT0_S4_
    .private_segment_fixed_size: 0
    .sgpr_count:     12
    .sgpr_spill_count: 0
    .symbol:         _Z33head_segmented_warp_reduce_kernelIihLj64ELj1EENSt9enable_ifIXsr10test_utilsE35device_test_enabled_for_warp_size_vIXT2_EEEvE4typeEPT_PT0_S4_.kd
    .uniform_work_group_size: 1
    .uses_dynamic_stack: false
    .vgpr_count:     4
    .vgpr_spill_count: 0
    .wavefront_size: 64
  - .agpr_count:     0
    .args:
      - .address_space:  global
        .offset:         0
        .size:           8
        .value_kind:     global_buffer
      - .address_space:  global
        .offset:         8
        .size:           8
        .value_kind:     global_buffer
      - .address_space:  global
        .offset:         16
        .size:           8
        .value_kind:     global_buffer
      - .offset:         24
        .size:           4
        .value_kind:     hidden_block_count_x
      - .offset:         28
        .size:           4
        .value_kind:     hidden_block_count_y
      - .offset:         32
        .size:           4
        .value_kind:     hidden_block_count_z
      - .offset:         36
        .size:           2
        .value_kind:     hidden_group_size_x
      - .offset:         38
        .size:           2
        .value_kind:     hidden_group_size_y
      - .offset:         40
        .size:           2
        .value_kind:     hidden_group_size_z
      - .offset:         42
        .size:           2
        .value_kind:     hidden_remainder_x
      - .offset:         44
        .size:           2
        .value_kind:     hidden_remainder_y
      - .offset:         46
        .size:           2
        .value_kind:     hidden_remainder_z
      - .offset:         64
        .size:           8
        .value_kind:     hidden_global_offset_x
      - .offset:         72
        .size:           8
        .value_kind:     hidden_global_offset_y
      - .offset:         80
        .size:           8
        .value_kind:     hidden_global_offset_z
      - .offset:         88
        .size:           2
        .value_kind:     hidden_grid_dims
    .group_segment_fixed_size: 244
    .kernarg_segment_align: 8
    .kernarg_segment_size: 280
    .language:       OpenCL C
    .language_version:
      - 2
      - 0
    .max_flat_workgroup_size: 1
    .name:           _Z33tail_segmented_warp_reduce_kernelIfhLj1ELj61EENSt9enable_ifIXsr10test_utilsE35device_test_enabled_for_warp_size_vIXT2_EEEvE4typeEPT_PT0_S4_
    .private_segment_fixed_size: 0
    .sgpr_count:     16
    .sgpr_spill_count: 0
    .symbol:         _Z33tail_segmented_warp_reduce_kernelIfhLj1ELj61EENSt9enable_ifIXsr10test_utilsE35device_test_enabled_for_warp_size_vIXT2_EEEvE4typeEPT_PT0_S4_.kd
    .uniform_work_group_size: 1
    .uses_dynamic_stack: false
    .vgpr_count:     7
    .vgpr_spill_count: 0
    .wavefront_size: 64
  - .agpr_count:     0
    .args:
      - .address_space:  global
        .offset:         0
        .size:           8
        .value_kind:     global_buffer
      - .address_space:  global
        .offset:         8
        .size:           8
        .value_kind:     global_buffer
      - .address_space:  global
        .offset:         16
        .size:           8
        .value_kind:     global_buffer
      - .offset:         24
        .size:           4
        .value_kind:     hidden_block_count_x
      - .offset:         28
        .size:           4
        .value_kind:     hidden_block_count_y
      - .offset:         32
        .size:           4
        .value_kind:     hidden_block_count_z
      - .offset:         36
        .size:           2
        .value_kind:     hidden_group_size_x
      - .offset:         38
        .size:           2
        .value_kind:     hidden_group_size_y
      - .offset:         40
        .size:           2
        .value_kind:     hidden_group_size_z
      - .offset:         42
        .size:           2
        .value_kind:     hidden_remainder_x
      - .offset:         44
        .size:           2
        .value_kind:     hidden_remainder_y
      - .offset:         46
        .size:           2
        .value_kind:     hidden_remainder_z
      - .offset:         64
        .size:           8
        .value_kind:     hidden_global_offset_x
      - .offset:         72
        .size:           8
        .value_kind:     hidden_global_offset_y
      - .offset:         80
        .size:           8
        .value_kind:     hidden_global_offset_z
      - .offset:         88
        .size:           2
        .value_kind:     hidden_grid_dims
    .group_segment_fixed_size: 244
    .kernarg_segment_align: 8
    .kernarg_segment_size: 280
    .language:       OpenCL C
    .language_version:
      - 2
      - 0
    .max_flat_workgroup_size: 61
    .name:           _Z33tail_segmented_warp_reduce_kernelIfhLj61ELj61EENSt9enable_ifIXsr10test_utilsE35device_test_enabled_for_warp_size_vIXT2_EEEvE4typeEPT_PT0_S4_
    .private_segment_fixed_size: 0
    .sgpr_count:     12
    .sgpr_spill_count: 0
    .symbol:         _Z33tail_segmented_warp_reduce_kernelIfhLj61ELj61EENSt9enable_ifIXsr10test_utilsE35device_test_enabled_for_warp_size_vIXT2_EEEvE4typeEPT_PT0_S4_.kd
    .uniform_work_group_size: 1
    .uses_dynamic_stack: false
    .vgpr_count:     10
    .vgpr_spill_count: 0
    .wavefront_size: 64
  - .agpr_count:     0
    .args:
      - .address_space:  global
        .offset:         0
        .size:           8
        .value_kind:     global_buffer
      - .address_space:  global
        .offset:         8
        .size:           8
        .value_kind:     global_buffer
      - .address_space:  global
        .offset:         16
        .size:           8
        .value_kind:     global_buffer
      - .offset:         24
        .size:           4
        .value_kind:     hidden_block_count_x
      - .offset:         28
        .size:           4
        .value_kind:     hidden_block_count_y
      - .offset:         32
        .size:           4
        .value_kind:     hidden_block_count_z
      - .offset:         36
        .size:           2
        .value_kind:     hidden_group_size_x
      - .offset:         38
        .size:           2
        .value_kind:     hidden_group_size_y
      - .offset:         40
        .size:           2
        .value_kind:     hidden_group_size_z
      - .offset:         42
        .size:           2
        .value_kind:     hidden_remainder_x
      - .offset:         44
        .size:           2
        .value_kind:     hidden_remainder_y
      - .offset:         46
        .size:           2
        .value_kind:     hidden_remainder_z
      - .offset:         64
        .size:           8
        .value_kind:     hidden_global_offset_x
      - .offset:         72
        .size:           8
        .value_kind:     hidden_global_offset_y
      - .offset:         80
        .size:           8
        .value_kind:     hidden_global_offset_z
      - .offset:         88
        .size:           2
        .value_kind:     hidden_grid_dims
    .group_segment_fixed_size: 148
    .kernarg_segment_align: 8
    .kernarg_segment_size: 280
    .language:       OpenCL C
    .language_version:
      - 2
      - 0
    .max_flat_workgroup_size: 1
    .name:           _Z33tail_segmented_warp_reduce_kernelIfhLj1ELj37EENSt9enable_ifIXsr10test_utilsE35device_test_enabled_for_warp_size_vIXT2_EEEvE4typeEPT_PT0_S4_
    .private_segment_fixed_size: 0
    .sgpr_count:     16
    .sgpr_spill_count: 0
    .symbol:         _Z33tail_segmented_warp_reduce_kernelIfhLj1ELj37EENSt9enable_ifIXsr10test_utilsE35device_test_enabled_for_warp_size_vIXT2_EEEvE4typeEPT_PT0_S4_.kd
    .uniform_work_group_size: 1
    .uses_dynamic_stack: false
    .vgpr_count:     7
    .vgpr_spill_count: 0
    .wavefront_size: 64
  - .agpr_count:     0
    .args:
      - .address_space:  global
        .offset:         0
        .size:           8
        .value_kind:     global_buffer
      - .address_space:  global
        .offset:         8
        .size:           8
        .value_kind:     global_buffer
      - .address_space:  global
        .offset:         16
        .size:           8
        .value_kind:     global_buffer
      - .offset:         24
        .size:           4
        .value_kind:     hidden_block_count_x
      - .offset:         28
        .size:           4
        .value_kind:     hidden_block_count_y
      - .offset:         32
        .size:           4
        .value_kind:     hidden_block_count_z
      - .offset:         36
        .size:           2
        .value_kind:     hidden_group_size_x
      - .offset:         38
        .size:           2
        .value_kind:     hidden_group_size_y
      - .offset:         40
        .size:           2
        .value_kind:     hidden_group_size_z
      - .offset:         42
        .size:           2
        .value_kind:     hidden_remainder_x
      - .offset:         44
        .size:           2
        .value_kind:     hidden_remainder_y
      - .offset:         46
        .size:           2
        .value_kind:     hidden_remainder_z
      - .offset:         64
        .size:           8
        .value_kind:     hidden_global_offset_x
      - .offset:         72
        .size:           8
        .value_kind:     hidden_global_offset_y
      - .offset:         80
        .size:           8
        .value_kind:     hidden_global_offset_z
      - .offset:         88
        .size:           2
        .value_kind:     hidden_grid_dims
    .group_segment_fixed_size: 148
    .kernarg_segment_align: 8
    .kernarg_segment_size: 280
    .language:       OpenCL C
    .language_version:
      - 2
      - 0
    .max_flat_workgroup_size: 37
    .name:           _Z33tail_segmented_warp_reduce_kernelIfhLj37ELj37EENSt9enable_ifIXsr10test_utilsE35device_test_enabled_for_warp_size_vIXT2_EEEvE4typeEPT_PT0_S4_
    .private_segment_fixed_size: 0
    .sgpr_count:     12
    .sgpr_spill_count: 0
    .symbol:         _Z33tail_segmented_warp_reduce_kernelIfhLj37ELj37EENSt9enable_ifIXsr10test_utilsE35device_test_enabled_for_warp_size_vIXT2_EEEvE4typeEPT_PT0_S4_.kd
    .uniform_work_group_size: 1
    .uses_dynamic_stack: false
    .vgpr_count:     10
    .vgpr_spill_count: 0
    .wavefront_size: 64
  - .agpr_count:     0
    .args:
      - .address_space:  global
        .offset:         0
        .size:           8
        .value_kind:     global_buffer
      - .address_space:  global
        .offset:         8
        .size:           8
        .value_kind:     global_buffer
      - .address_space:  global
        .offset:         16
        .size:           8
        .value_kind:     global_buffer
      - .offset:         24
        .size:           4
        .value_kind:     hidden_block_count_x
      - .offset:         28
        .size:           4
        .value_kind:     hidden_block_count_y
      - .offset:         32
        .size:           4
        .value_kind:     hidden_block_count_z
      - .offset:         36
        .size:           2
        .value_kind:     hidden_group_size_x
      - .offset:         38
        .size:           2
        .value_kind:     hidden_group_size_y
      - .offset:         40
        .size:           2
        .value_kind:     hidden_group_size_z
      - .offset:         42
        .size:           2
        .value_kind:     hidden_remainder_x
      - .offset:         44
        .size:           2
        .value_kind:     hidden_remainder_y
      - .offset:         46
        .size:           2
        .value_kind:     hidden_remainder_z
      - .offset:         64
        .size:           8
        .value_kind:     hidden_global_offset_x
      - .offset:         72
        .size:           8
        .value_kind:     hidden_global_offset_y
      - .offset:         80
        .size:           8
        .value_kind:     hidden_global_offset_z
      - .offset:         88
        .size:           2
        .value_kind:     hidden_grid_dims
    .group_segment_fixed_size: 120
    .kernarg_segment_align: 8
    .kernarg_segment_size: 280
    .language:       OpenCL C
    .language_version:
      - 2
      - 0
    .max_flat_workgroup_size: 30
    .name:           _Z33tail_segmented_warp_reduce_kernelIfhLj30ELj15EENSt9enable_ifIXsr10test_utilsE35device_test_enabled_for_warp_size_vIXT2_EEEvE4typeEPT_PT0_S4_
    .private_segment_fixed_size: 0
    .sgpr_count:     12
    .sgpr_spill_count: 0
    .symbol:         _Z33tail_segmented_warp_reduce_kernelIfhLj30ELj15EENSt9enable_ifIXsr10test_utilsE35device_test_enabled_for_warp_size_vIXT2_EEEvE4typeEPT_PT0_S4_.kd
    .uniform_work_group_size: 1
    .uses_dynamic_stack: false
    .vgpr_count:     10
    .vgpr_spill_count: 0
    .wavefront_size: 64
  - .agpr_count:     0
    .args:
      - .address_space:  global
        .offset:         0
        .size:           8
        .value_kind:     global_buffer
      - .address_space:  global
        .offset:         8
        .size:           8
        .value_kind:     global_buffer
      - .address_space:  global
        .offset:         16
        .size:           8
        .value_kind:     global_buffer
      - .offset:         24
        .size:           4
        .value_kind:     hidden_block_count_x
      - .offset:         28
        .size:           4
        .value_kind:     hidden_block_count_y
      - .offset:         32
        .size:           4
        .value_kind:     hidden_block_count_z
      - .offset:         36
        .size:           2
        .value_kind:     hidden_group_size_x
      - .offset:         38
        .size:           2
        .value_kind:     hidden_group_size_y
      - .offset:         40
        .size:           2
        .value_kind:     hidden_group_size_z
      - .offset:         42
        .size:           2
        .value_kind:     hidden_remainder_x
      - .offset:         44
        .size:           2
        .value_kind:     hidden_remainder_y
      - .offset:         46
        .size:           2
        .value_kind:     hidden_remainder_z
      - .offset:         64
        .size:           8
        .value_kind:     hidden_global_offset_x
      - .offset:         72
        .size:           8
        .value_kind:     hidden_global_offset_y
      - .offset:         80
        .size:           8
        .value_kind:     hidden_global_offset_z
      - .offset:         88
        .size:           2
        .value_kind:     hidden_grid_dims
    .group_segment_fixed_size: 240
    .kernarg_segment_align: 8
    .kernarg_segment_size: 280
    .language:       OpenCL C
    .language_version:
      - 2
      - 0
    .max_flat_workgroup_size: 60
    .name:           _Z33tail_segmented_warp_reduce_kernelIfhLj60ELj15EENSt9enable_ifIXsr10test_utilsE35device_test_enabled_for_warp_size_vIXT2_EEEvE4typeEPT_PT0_S4_
    .private_segment_fixed_size: 0
    .sgpr_count:     12
    .sgpr_spill_count: 0
    .symbol:         _Z33tail_segmented_warp_reduce_kernelIfhLj60ELj15EENSt9enable_ifIXsr10test_utilsE35device_test_enabled_for_warp_size_vIXT2_EEEvE4typeEPT_PT0_S4_.kd
    .uniform_work_group_size: 1
    .uses_dynamic_stack: false
    .vgpr_count:     10
    .vgpr_spill_count: 0
    .wavefront_size: 64
  - .agpr_count:     0
    .args:
      - .address_space:  global
        .offset:         0
        .size:           8
        .value_kind:     global_buffer
      - .address_space:  global
        .offset:         8
        .size:           8
        .value_kind:     global_buffer
      - .address_space:  global
        .offset:         16
        .size:           8
        .value_kind:     global_buffer
      - .offset:         24
        .size:           4
        .value_kind:     hidden_block_count_x
      - .offset:         28
        .size:           4
        .value_kind:     hidden_block_count_y
      - .offset:         32
        .size:           4
        .value_kind:     hidden_block_count_z
      - .offset:         36
        .size:           2
        .value_kind:     hidden_group_size_x
      - .offset:         38
        .size:           2
        .value_kind:     hidden_group_size_y
      - .offset:         40
        .size:           2
        .value_kind:     hidden_group_size_z
      - .offset:         42
        .size:           2
        .value_kind:     hidden_remainder_x
      - .offset:         44
        .size:           2
        .value_kind:     hidden_remainder_y
      - .offset:         46
        .size:           2
        .value_kind:     hidden_remainder_z
      - .offset:         64
        .size:           8
        .value_kind:     hidden_global_offset_x
      - .offset:         72
        .size:           8
        .value_kind:     hidden_global_offset_y
      - .offset:         80
        .size:           8
        .value_kind:     hidden_global_offset_z
      - .offset:         88
        .size:           2
        .value_kind:     hidden_grid_dims
    .group_segment_fixed_size: 112
    .kernarg_segment_align: 8
    .kernarg_segment_size: 280
    .language:       OpenCL C
    .language_version:
      - 2
      - 0
    .max_flat_workgroup_size: 28
    .name:           _Z33tail_segmented_warp_reduce_kernelIfhLj28ELj7EENSt9enable_ifIXsr10test_utilsE35device_test_enabled_for_warp_size_vIXT2_EEEvE4typeEPT_PT0_S4_
    .private_segment_fixed_size: 0
    .sgpr_count:     16
    .sgpr_spill_count: 0
    .symbol:         _Z33tail_segmented_warp_reduce_kernelIfhLj28ELj7EENSt9enable_ifIXsr10test_utilsE35device_test_enabled_for_warp_size_vIXT2_EEEvE4typeEPT_PT0_S4_.kd
    .uniform_work_group_size: 1
    .uses_dynamic_stack: false
    .vgpr_count:     10
    .vgpr_spill_count: 0
    .wavefront_size: 64
  - .agpr_count:     0
    .args:
      - .address_space:  global
        .offset:         0
        .size:           8
        .value_kind:     global_buffer
      - .address_space:  global
        .offset:         8
        .size:           8
        .value_kind:     global_buffer
      - .address_space:  global
        .offset:         16
        .size:           8
        .value_kind:     global_buffer
      - .offset:         24
        .size:           4
        .value_kind:     hidden_block_count_x
      - .offset:         28
        .size:           4
        .value_kind:     hidden_block_count_y
      - .offset:         32
        .size:           4
        .value_kind:     hidden_block_count_z
      - .offset:         36
        .size:           2
        .value_kind:     hidden_group_size_x
      - .offset:         38
        .size:           2
        .value_kind:     hidden_group_size_y
      - .offset:         40
        .size:           2
        .value_kind:     hidden_group_size_z
      - .offset:         42
        .size:           2
        .value_kind:     hidden_remainder_x
      - .offset:         44
        .size:           2
        .value_kind:     hidden_remainder_y
      - .offset:         46
        .size:           2
        .value_kind:     hidden_remainder_z
      - .offset:         64
        .size:           8
        .value_kind:     hidden_global_offset_x
      - .offset:         72
        .size:           8
        .value_kind:     hidden_global_offset_y
      - .offset:         80
        .size:           8
        .value_kind:     hidden_global_offset_z
      - .offset:         88
        .size:           2
        .value_kind:     hidden_grid_dims
    .group_segment_fixed_size: 252
    .kernarg_segment_align: 8
    .kernarg_segment_size: 280
    .language:       OpenCL C
    .language_version:
      - 2
      - 0
    .max_flat_workgroup_size: 63
    .name:           _Z33tail_segmented_warp_reduce_kernelIfhLj63ELj7EENSt9enable_ifIXsr10test_utilsE35device_test_enabled_for_warp_size_vIXT2_EEEvE4typeEPT_PT0_S4_
    .private_segment_fixed_size: 0
    .sgpr_count:     16
    .sgpr_spill_count: 0
    .symbol:         _Z33tail_segmented_warp_reduce_kernelIfhLj63ELj7EENSt9enable_ifIXsr10test_utilsE35device_test_enabled_for_warp_size_vIXT2_EEEvE4typeEPT_PT0_S4_.kd
    .uniform_work_group_size: 1
    .uses_dynamic_stack: false
    .vgpr_count:     10
    .vgpr_spill_count: 0
    .wavefront_size: 64
  - .agpr_count:     0
    .args:
      - .address_space:  global
        .offset:         0
        .size:           8
        .value_kind:     global_buffer
      - .address_space:  global
        .offset:         8
        .size:           8
        .value_kind:     global_buffer
      - .address_space:  global
        .offset:         16
        .size:           8
        .value_kind:     global_buffer
      - .offset:         24
        .size:           4
        .value_kind:     hidden_block_count_x
      - .offset:         28
        .size:           4
        .value_kind:     hidden_block_count_y
      - .offset:         32
        .size:           4
        .value_kind:     hidden_block_count_z
      - .offset:         36
        .size:           2
        .value_kind:     hidden_group_size_x
      - .offset:         38
        .size:           2
        .value_kind:     hidden_group_size_y
      - .offset:         40
        .size:           2
        .value_kind:     hidden_group_size_z
      - .offset:         42
        .size:           2
        .value_kind:     hidden_remainder_x
      - .offset:         44
        .size:           2
        .value_kind:     hidden_remainder_y
      - .offset:         46
        .size:           2
        .value_kind:     hidden_remainder_z
      - .offset:         64
        .size:           8
        .value_kind:     hidden_global_offset_x
      - .offset:         72
        .size:           8
        .value_kind:     hidden_global_offset_y
      - .offset:         80
        .size:           8
        .value_kind:     hidden_global_offset_z
      - .offset:         88
        .size:           2
        .value_kind:     hidden_grid_dims
    .group_segment_fixed_size: 120
    .kernarg_segment_align: 8
    .kernarg_segment_size: 280
    .language:       OpenCL C
    .language_version:
      - 2
      - 0
    .max_flat_workgroup_size: 30
    .name:           _Z33tail_segmented_warp_reduce_kernelIfhLj30ELj3EENSt9enable_ifIXsr10test_utilsE35device_test_enabled_for_warp_size_vIXT2_EEEvE4typeEPT_PT0_S4_
    .private_segment_fixed_size: 0
    .sgpr_count:     16
    .sgpr_spill_count: 0
    .symbol:         _Z33tail_segmented_warp_reduce_kernelIfhLj30ELj3EENSt9enable_ifIXsr10test_utilsE35device_test_enabled_for_warp_size_vIXT2_EEEvE4typeEPT_PT0_S4_.kd
    .uniform_work_group_size: 1
    .uses_dynamic_stack: false
    .vgpr_count:     10
    .vgpr_spill_count: 0
    .wavefront_size: 64
  - .agpr_count:     0
    .args:
      - .address_space:  global
        .offset:         0
        .size:           8
        .value_kind:     global_buffer
      - .address_space:  global
        .offset:         8
        .size:           8
        .value_kind:     global_buffer
      - .address_space:  global
        .offset:         16
        .size:           8
        .value_kind:     global_buffer
      - .offset:         24
        .size:           4
        .value_kind:     hidden_block_count_x
      - .offset:         28
        .size:           4
        .value_kind:     hidden_block_count_y
      - .offset:         32
        .size:           4
        .value_kind:     hidden_block_count_z
      - .offset:         36
        .size:           2
        .value_kind:     hidden_group_size_x
      - .offset:         38
        .size:           2
        .value_kind:     hidden_group_size_y
      - .offset:         40
        .size:           2
        .value_kind:     hidden_group_size_z
      - .offset:         42
        .size:           2
        .value_kind:     hidden_remainder_x
      - .offset:         44
        .size:           2
        .value_kind:     hidden_remainder_y
      - .offset:         46
        .size:           2
        .value_kind:     hidden_remainder_z
      - .offset:         64
        .size:           8
        .value_kind:     hidden_global_offset_x
      - .offset:         72
        .size:           8
        .value_kind:     hidden_global_offset_y
      - .offset:         80
        .size:           8
        .value_kind:     hidden_global_offset_z
      - .offset:         88
        .size:           2
        .value_kind:     hidden_grid_dims
    .group_segment_fixed_size: 252
    .kernarg_segment_align: 8
    .kernarg_segment_size: 280
    .language:       OpenCL C
    .language_version:
      - 2
      - 0
    .max_flat_workgroup_size: 63
    .name:           _Z33tail_segmented_warp_reduce_kernelIfhLj63ELj3EENSt9enable_ifIXsr10test_utilsE35device_test_enabled_for_warp_size_vIXT2_EEEvE4typeEPT_PT0_S4_
    .private_segment_fixed_size: 0
    .sgpr_count:     16
    .sgpr_spill_count: 0
    .symbol:         _Z33tail_segmented_warp_reduce_kernelIfhLj63ELj3EENSt9enable_ifIXsr10test_utilsE35device_test_enabled_for_warp_size_vIXT2_EEEvE4typeEPT_PT0_S4_.kd
    .uniform_work_group_size: 1
    .uses_dynamic_stack: false
    .vgpr_count:     10
    .vgpr_spill_count: 0
    .wavefront_size: 64
  - .agpr_count:     0
    .args:
      - .address_space:  global
        .offset:         0
        .size:           8
        .value_kind:     global_buffer
      - .address_space:  global
        .offset:         8
        .size:           8
        .value_kind:     global_buffer
      - .address_space:  global
        .offset:         16
        .size:           8
        .value_kind:     global_buffer
      - .offset:         24
        .size:           4
        .value_kind:     hidden_block_count_x
      - .offset:         28
        .size:           4
        .value_kind:     hidden_block_count_y
      - .offset:         32
        .size:           4
        .value_kind:     hidden_block_count_z
      - .offset:         36
        .size:           2
        .value_kind:     hidden_group_size_x
      - .offset:         38
        .size:           2
        .value_kind:     hidden_group_size_y
      - .offset:         40
        .size:           2
        .value_kind:     hidden_group_size_z
      - .offset:         42
        .size:           2
        .value_kind:     hidden_remainder_x
      - .offset:         44
        .size:           2
        .value_kind:     hidden_remainder_y
      - .offset:         46
        .size:           2
        .value_kind:     hidden_remainder_z
      - .offset:         64
        .size:           8
        .value_kind:     hidden_global_offset_x
      - .offset:         72
        .size:           8
        .value_kind:     hidden_global_offset_y
      - .offset:         80
        .size:           8
        .value_kind:     hidden_global_offset_z
      - .offset:         88
        .size:           2
        .value_kind:     hidden_grid_dims
    .group_segment_fixed_size: 244
    .kernarg_segment_align: 8
    .kernarg_segment_size: 280
    .language:       OpenCL C
    .language_version:
      - 2
      - 0
    .max_flat_workgroup_size: 1
    .name:           _Z33tail_segmented_warp_reduce_kernelIihLj1ELj61EENSt9enable_ifIXsr10test_utilsE35device_test_enabled_for_warp_size_vIXT2_EEEvE4typeEPT_PT0_S4_
    .private_segment_fixed_size: 0
    .sgpr_count:     16
    .sgpr_spill_count: 0
    .symbol:         _Z33tail_segmented_warp_reduce_kernelIihLj1ELj61EENSt9enable_ifIXsr10test_utilsE35device_test_enabled_for_warp_size_vIXT2_EEEvE4typeEPT_PT0_S4_.kd
    .uniform_work_group_size: 1
    .uses_dynamic_stack: false
    .vgpr_count:     7
    .vgpr_spill_count: 0
    .wavefront_size: 64
  - .agpr_count:     0
    .args:
      - .address_space:  global
        .offset:         0
        .size:           8
        .value_kind:     global_buffer
      - .address_space:  global
        .offset:         8
        .size:           8
        .value_kind:     global_buffer
      - .address_space:  global
        .offset:         16
        .size:           8
        .value_kind:     global_buffer
      - .offset:         24
        .size:           4
        .value_kind:     hidden_block_count_x
      - .offset:         28
        .size:           4
        .value_kind:     hidden_block_count_y
      - .offset:         32
        .size:           4
        .value_kind:     hidden_block_count_z
      - .offset:         36
        .size:           2
        .value_kind:     hidden_group_size_x
      - .offset:         38
        .size:           2
        .value_kind:     hidden_group_size_y
      - .offset:         40
        .size:           2
        .value_kind:     hidden_group_size_z
      - .offset:         42
        .size:           2
        .value_kind:     hidden_remainder_x
      - .offset:         44
        .size:           2
        .value_kind:     hidden_remainder_y
      - .offset:         46
        .size:           2
        .value_kind:     hidden_remainder_z
      - .offset:         64
        .size:           8
        .value_kind:     hidden_global_offset_x
      - .offset:         72
        .size:           8
        .value_kind:     hidden_global_offset_y
      - .offset:         80
        .size:           8
        .value_kind:     hidden_global_offset_z
      - .offset:         88
        .size:           2
        .value_kind:     hidden_grid_dims
    .group_segment_fixed_size: 244
    .kernarg_segment_align: 8
    .kernarg_segment_size: 280
    .language:       OpenCL C
    .language_version:
      - 2
      - 0
    .max_flat_workgroup_size: 61
    .name:           _Z33tail_segmented_warp_reduce_kernelIihLj61ELj61EENSt9enable_ifIXsr10test_utilsE35device_test_enabled_for_warp_size_vIXT2_EEEvE4typeEPT_PT0_S4_
    .private_segment_fixed_size: 0
    .sgpr_count:     12
    .sgpr_spill_count: 0
    .symbol:         _Z33tail_segmented_warp_reduce_kernelIihLj61ELj61EENSt9enable_ifIXsr10test_utilsE35device_test_enabled_for_warp_size_vIXT2_EEEvE4typeEPT_PT0_S4_.kd
    .uniform_work_group_size: 1
    .uses_dynamic_stack: false
    .vgpr_count:     10
    .vgpr_spill_count: 0
    .wavefront_size: 64
  - .agpr_count:     0
    .args:
      - .address_space:  global
        .offset:         0
        .size:           8
        .value_kind:     global_buffer
      - .address_space:  global
        .offset:         8
        .size:           8
        .value_kind:     global_buffer
      - .address_space:  global
        .offset:         16
        .size:           8
        .value_kind:     global_buffer
      - .offset:         24
        .size:           4
        .value_kind:     hidden_block_count_x
      - .offset:         28
        .size:           4
        .value_kind:     hidden_block_count_y
      - .offset:         32
        .size:           4
        .value_kind:     hidden_block_count_z
      - .offset:         36
        .size:           2
        .value_kind:     hidden_group_size_x
      - .offset:         38
        .size:           2
        .value_kind:     hidden_group_size_y
      - .offset:         40
        .size:           2
        .value_kind:     hidden_group_size_z
      - .offset:         42
        .size:           2
        .value_kind:     hidden_remainder_x
      - .offset:         44
        .size:           2
        .value_kind:     hidden_remainder_y
      - .offset:         46
        .size:           2
        .value_kind:     hidden_remainder_z
      - .offset:         64
        .size:           8
        .value_kind:     hidden_global_offset_x
      - .offset:         72
        .size:           8
        .value_kind:     hidden_global_offset_y
      - .offset:         80
        .size:           8
        .value_kind:     hidden_global_offset_z
      - .offset:         88
        .size:           2
        .value_kind:     hidden_grid_dims
    .group_segment_fixed_size: 148
    .kernarg_segment_align: 8
    .kernarg_segment_size: 280
    .language:       OpenCL C
    .language_version:
      - 2
      - 0
    .max_flat_workgroup_size: 1
    .name:           _Z33tail_segmented_warp_reduce_kernelIihLj1ELj37EENSt9enable_ifIXsr10test_utilsE35device_test_enabled_for_warp_size_vIXT2_EEEvE4typeEPT_PT0_S4_
    .private_segment_fixed_size: 0
    .sgpr_count:     16
    .sgpr_spill_count: 0
    .symbol:         _Z33tail_segmented_warp_reduce_kernelIihLj1ELj37EENSt9enable_ifIXsr10test_utilsE35device_test_enabled_for_warp_size_vIXT2_EEEvE4typeEPT_PT0_S4_.kd
    .uniform_work_group_size: 1
    .uses_dynamic_stack: false
    .vgpr_count:     7
    .vgpr_spill_count: 0
    .wavefront_size: 64
  - .agpr_count:     0
    .args:
      - .address_space:  global
        .offset:         0
        .size:           8
        .value_kind:     global_buffer
      - .address_space:  global
        .offset:         8
        .size:           8
        .value_kind:     global_buffer
      - .address_space:  global
        .offset:         16
        .size:           8
        .value_kind:     global_buffer
      - .offset:         24
        .size:           4
        .value_kind:     hidden_block_count_x
      - .offset:         28
        .size:           4
        .value_kind:     hidden_block_count_y
      - .offset:         32
        .size:           4
        .value_kind:     hidden_block_count_z
      - .offset:         36
        .size:           2
        .value_kind:     hidden_group_size_x
      - .offset:         38
        .size:           2
        .value_kind:     hidden_group_size_y
      - .offset:         40
        .size:           2
        .value_kind:     hidden_group_size_z
      - .offset:         42
        .size:           2
        .value_kind:     hidden_remainder_x
      - .offset:         44
        .size:           2
        .value_kind:     hidden_remainder_y
      - .offset:         46
        .size:           2
        .value_kind:     hidden_remainder_z
      - .offset:         64
        .size:           8
        .value_kind:     hidden_global_offset_x
      - .offset:         72
        .size:           8
        .value_kind:     hidden_global_offset_y
      - .offset:         80
        .size:           8
        .value_kind:     hidden_global_offset_z
      - .offset:         88
        .size:           2
        .value_kind:     hidden_grid_dims
    .group_segment_fixed_size: 148
    .kernarg_segment_align: 8
    .kernarg_segment_size: 280
    .language:       OpenCL C
    .language_version:
      - 2
      - 0
    .max_flat_workgroup_size: 37
    .name:           _Z33tail_segmented_warp_reduce_kernelIihLj37ELj37EENSt9enable_ifIXsr10test_utilsE35device_test_enabled_for_warp_size_vIXT2_EEEvE4typeEPT_PT0_S4_
    .private_segment_fixed_size: 0
    .sgpr_count:     12
    .sgpr_spill_count: 0
    .symbol:         _Z33tail_segmented_warp_reduce_kernelIihLj37ELj37EENSt9enable_ifIXsr10test_utilsE35device_test_enabled_for_warp_size_vIXT2_EEEvE4typeEPT_PT0_S4_.kd
    .uniform_work_group_size: 1
    .uses_dynamic_stack: false
    .vgpr_count:     10
    .vgpr_spill_count: 0
    .wavefront_size: 64
  - .agpr_count:     0
    .args:
      - .address_space:  global
        .offset:         0
        .size:           8
        .value_kind:     global_buffer
      - .address_space:  global
        .offset:         8
        .size:           8
        .value_kind:     global_buffer
      - .address_space:  global
        .offset:         16
        .size:           8
        .value_kind:     global_buffer
      - .offset:         24
        .size:           4
        .value_kind:     hidden_block_count_x
      - .offset:         28
        .size:           4
        .value_kind:     hidden_block_count_y
      - .offset:         32
        .size:           4
        .value_kind:     hidden_block_count_z
      - .offset:         36
        .size:           2
        .value_kind:     hidden_group_size_x
      - .offset:         38
        .size:           2
        .value_kind:     hidden_group_size_y
      - .offset:         40
        .size:           2
        .value_kind:     hidden_group_size_z
      - .offset:         42
        .size:           2
        .value_kind:     hidden_remainder_x
      - .offset:         44
        .size:           2
        .value_kind:     hidden_remainder_y
      - .offset:         46
        .size:           2
        .value_kind:     hidden_remainder_z
      - .offset:         64
        .size:           8
        .value_kind:     hidden_global_offset_x
      - .offset:         72
        .size:           8
        .value_kind:     hidden_global_offset_y
      - .offset:         80
        .size:           8
        .value_kind:     hidden_global_offset_z
      - .offset:         88
        .size:           2
        .value_kind:     hidden_grid_dims
    .group_segment_fixed_size: 120
    .kernarg_segment_align: 8
    .kernarg_segment_size: 280
    .language:       OpenCL C
    .language_version:
      - 2
      - 0
    .max_flat_workgroup_size: 30
    .name:           _Z33tail_segmented_warp_reduce_kernelIihLj30ELj15EENSt9enable_ifIXsr10test_utilsE35device_test_enabled_for_warp_size_vIXT2_EEEvE4typeEPT_PT0_S4_
    .private_segment_fixed_size: 0
    .sgpr_count:     12
    .sgpr_spill_count: 0
    .symbol:         _Z33tail_segmented_warp_reduce_kernelIihLj30ELj15EENSt9enable_ifIXsr10test_utilsE35device_test_enabled_for_warp_size_vIXT2_EEEvE4typeEPT_PT0_S4_.kd
    .uniform_work_group_size: 1
    .uses_dynamic_stack: false
    .vgpr_count:     10
    .vgpr_spill_count: 0
    .wavefront_size: 64
  - .agpr_count:     0
    .args:
      - .address_space:  global
        .offset:         0
        .size:           8
        .value_kind:     global_buffer
      - .address_space:  global
        .offset:         8
        .size:           8
        .value_kind:     global_buffer
      - .address_space:  global
        .offset:         16
        .size:           8
        .value_kind:     global_buffer
      - .offset:         24
        .size:           4
        .value_kind:     hidden_block_count_x
      - .offset:         28
        .size:           4
        .value_kind:     hidden_block_count_y
      - .offset:         32
        .size:           4
        .value_kind:     hidden_block_count_z
      - .offset:         36
        .size:           2
        .value_kind:     hidden_group_size_x
      - .offset:         38
        .size:           2
        .value_kind:     hidden_group_size_y
      - .offset:         40
        .size:           2
        .value_kind:     hidden_group_size_z
      - .offset:         42
        .size:           2
        .value_kind:     hidden_remainder_x
      - .offset:         44
        .size:           2
        .value_kind:     hidden_remainder_y
      - .offset:         46
        .size:           2
        .value_kind:     hidden_remainder_z
      - .offset:         64
        .size:           8
        .value_kind:     hidden_global_offset_x
      - .offset:         72
        .size:           8
        .value_kind:     hidden_global_offset_y
      - .offset:         80
        .size:           8
        .value_kind:     hidden_global_offset_z
      - .offset:         88
        .size:           2
        .value_kind:     hidden_grid_dims
    .group_segment_fixed_size: 240
    .kernarg_segment_align: 8
    .kernarg_segment_size: 280
    .language:       OpenCL C
    .language_version:
      - 2
      - 0
    .max_flat_workgroup_size: 60
    .name:           _Z33tail_segmented_warp_reduce_kernelIihLj60ELj15EENSt9enable_ifIXsr10test_utilsE35device_test_enabled_for_warp_size_vIXT2_EEEvE4typeEPT_PT0_S4_
    .private_segment_fixed_size: 0
    .sgpr_count:     12
    .sgpr_spill_count: 0
    .symbol:         _Z33tail_segmented_warp_reduce_kernelIihLj60ELj15EENSt9enable_ifIXsr10test_utilsE35device_test_enabled_for_warp_size_vIXT2_EEEvE4typeEPT_PT0_S4_.kd
    .uniform_work_group_size: 1
    .uses_dynamic_stack: false
    .vgpr_count:     10
    .vgpr_spill_count: 0
    .wavefront_size: 64
  - .agpr_count:     0
    .args:
      - .address_space:  global
        .offset:         0
        .size:           8
        .value_kind:     global_buffer
      - .address_space:  global
        .offset:         8
        .size:           8
        .value_kind:     global_buffer
      - .address_space:  global
        .offset:         16
        .size:           8
        .value_kind:     global_buffer
      - .offset:         24
        .size:           4
        .value_kind:     hidden_block_count_x
      - .offset:         28
        .size:           4
        .value_kind:     hidden_block_count_y
      - .offset:         32
        .size:           4
        .value_kind:     hidden_block_count_z
      - .offset:         36
        .size:           2
        .value_kind:     hidden_group_size_x
      - .offset:         38
        .size:           2
        .value_kind:     hidden_group_size_y
      - .offset:         40
        .size:           2
        .value_kind:     hidden_group_size_z
      - .offset:         42
        .size:           2
        .value_kind:     hidden_remainder_x
      - .offset:         44
        .size:           2
        .value_kind:     hidden_remainder_y
      - .offset:         46
        .size:           2
        .value_kind:     hidden_remainder_z
      - .offset:         64
        .size:           8
        .value_kind:     hidden_global_offset_x
      - .offset:         72
        .size:           8
        .value_kind:     hidden_global_offset_y
      - .offset:         80
        .size:           8
        .value_kind:     hidden_global_offset_z
      - .offset:         88
        .size:           2
        .value_kind:     hidden_grid_dims
    .group_segment_fixed_size: 112
    .kernarg_segment_align: 8
    .kernarg_segment_size: 280
    .language:       OpenCL C
    .language_version:
      - 2
      - 0
    .max_flat_workgroup_size: 28
    .name:           _Z33tail_segmented_warp_reduce_kernelIihLj28ELj7EENSt9enable_ifIXsr10test_utilsE35device_test_enabled_for_warp_size_vIXT2_EEEvE4typeEPT_PT0_S4_
    .private_segment_fixed_size: 0
    .sgpr_count:     16
    .sgpr_spill_count: 0
    .symbol:         _Z33tail_segmented_warp_reduce_kernelIihLj28ELj7EENSt9enable_ifIXsr10test_utilsE35device_test_enabled_for_warp_size_vIXT2_EEEvE4typeEPT_PT0_S4_.kd
    .uniform_work_group_size: 1
    .uses_dynamic_stack: false
    .vgpr_count:     10
    .vgpr_spill_count: 0
    .wavefront_size: 64
  - .agpr_count:     0
    .args:
      - .address_space:  global
        .offset:         0
        .size:           8
        .value_kind:     global_buffer
      - .address_space:  global
        .offset:         8
        .size:           8
        .value_kind:     global_buffer
      - .address_space:  global
        .offset:         16
        .size:           8
        .value_kind:     global_buffer
      - .offset:         24
        .size:           4
        .value_kind:     hidden_block_count_x
      - .offset:         28
        .size:           4
        .value_kind:     hidden_block_count_y
      - .offset:         32
        .size:           4
        .value_kind:     hidden_block_count_z
      - .offset:         36
        .size:           2
        .value_kind:     hidden_group_size_x
      - .offset:         38
        .size:           2
        .value_kind:     hidden_group_size_y
      - .offset:         40
        .size:           2
        .value_kind:     hidden_group_size_z
      - .offset:         42
        .size:           2
        .value_kind:     hidden_remainder_x
      - .offset:         44
        .size:           2
        .value_kind:     hidden_remainder_y
      - .offset:         46
        .size:           2
        .value_kind:     hidden_remainder_z
      - .offset:         64
        .size:           8
        .value_kind:     hidden_global_offset_x
      - .offset:         72
        .size:           8
        .value_kind:     hidden_global_offset_y
      - .offset:         80
        .size:           8
        .value_kind:     hidden_global_offset_z
      - .offset:         88
        .size:           2
        .value_kind:     hidden_grid_dims
    .group_segment_fixed_size: 252
    .kernarg_segment_align: 8
    .kernarg_segment_size: 280
    .language:       OpenCL C
    .language_version:
      - 2
      - 0
    .max_flat_workgroup_size: 63
    .name:           _Z33tail_segmented_warp_reduce_kernelIihLj63ELj7EENSt9enable_ifIXsr10test_utilsE35device_test_enabled_for_warp_size_vIXT2_EEEvE4typeEPT_PT0_S4_
    .private_segment_fixed_size: 0
    .sgpr_count:     16
    .sgpr_spill_count: 0
    .symbol:         _Z33tail_segmented_warp_reduce_kernelIihLj63ELj7EENSt9enable_ifIXsr10test_utilsE35device_test_enabled_for_warp_size_vIXT2_EEEvE4typeEPT_PT0_S4_.kd
    .uniform_work_group_size: 1
    .uses_dynamic_stack: false
    .vgpr_count:     10
    .vgpr_spill_count: 0
    .wavefront_size: 64
  - .agpr_count:     0
    .args:
      - .address_space:  global
        .offset:         0
        .size:           8
        .value_kind:     global_buffer
      - .address_space:  global
        .offset:         8
        .size:           8
        .value_kind:     global_buffer
      - .address_space:  global
        .offset:         16
        .size:           8
        .value_kind:     global_buffer
      - .offset:         24
        .size:           4
        .value_kind:     hidden_block_count_x
      - .offset:         28
        .size:           4
        .value_kind:     hidden_block_count_y
      - .offset:         32
        .size:           4
        .value_kind:     hidden_block_count_z
      - .offset:         36
        .size:           2
        .value_kind:     hidden_group_size_x
      - .offset:         38
        .size:           2
        .value_kind:     hidden_group_size_y
      - .offset:         40
        .size:           2
        .value_kind:     hidden_group_size_z
      - .offset:         42
        .size:           2
        .value_kind:     hidden_remainder_x
      - .offset:         44
        .size:           2
        .value_kind:     hidden_remainder_y
      - .offset:         46
        .size:           2
        .value_kind:     hidden_remainder_z
      - .offset:         64
        .size:           8
        .value_kind:     hidden_global_offset_x
      - .offset:         72
        .size:           8
        .value_kind:     hidden_global_offset_y
      - .offset:         80
        .size:           8
        .value_kind:     hidden_global_offset_z
      - .offset:         88
        .size:           2
        .value_kind:     hidden_grid_dims
    .group_segment_fixed_size: 120
    .kernarg_segment_align: 8
    .kernarg_segment_size: 280
    .language:       OpenCL C
    .language_version:
      - 2
      - 0
    .max_flat_workgroup_size: 30
    .name:           _Z33tail_segmented_warp_reduce_kernelIihLj30ELj3EENSt9enable_ifIXsr10test_utilsE35device_test_enabled_for_warp_size_vIXT2_EEEvE4typeEPT_PT0_S4_
    .private_segment_fixed_size: 0
    .sgpr_count:     16
    .sgpr_spill_count: 0
    .symbol:         _Z33tail_segmented_warp_reduce_kernelIihLj30ELj3EENSt9enable_ifIXsr10test_utilsE35device_test_enabled_for_warp_size_vIXT2_EEEvE4typeEPT_PT0_S4_.kd
    .uniform_work_group_size: 1
    .uses_dynamic_stack: false
    .vgpr_count:     10
    .vgpr_spill_count: 0
    .wavefront_size: 64
  - .agpr_count:     0
    .args:
      - .address_space:  global
        .offset:         0
        .size:           8
        .value_kind:     global_buffer
      - .address_space:  global
        .offset:         8
        .size:           8
        .value_kind:     global_buffer
      - .address_space:  global
        .offset:         16
        .size:           8
        .value_kind:     global_buffer
      - .offset:         24
        .size:           4
        .value_kind:     hidden_block_count_x
      - .offset:         28
        .size:           4
        .value_kind:     hidden_block_count_y
      - .offset:         32
        .size:           4
        .value_kind:     hidden_block_count_z
      - .offset:         36
        .size:           2
        .value_kind:     hidden_group_size_x
      - .offset:         38
        .size:           2
        .value_kind:     hidden_group_size_y
      - .offset:         40
        .size:           2
        .value_kind:     hidden_group_size_z
      - .offset:         42
        .size:           2
        .value_kind:     hidden_remainder_x
      - .offset:         44
        .size:           2
        .value_kind:     hidden_remainder_y
      - .offset:         46
        .size:           2
        .value_kind:     hidden_remainder_z
      - .offset:         64
        .size:           8
        .value_kind:     hidden_global_offset_x
      - .offset:         72
        .size:           8
        .value_kind:     hidden_global_offset_y
      - .offset:         80
        .size:           8
        .value_kind:     hidden_global_offset_z
      - .offset:         88
        .size:           2
        .value_kind:     hidden_grid_dims
    .group_segment_fixed_size: 252
    .kernarg_segment_align: 8
    .kernarg_segment_size: 280
    .language:       OpenCL C
    .language_version:
      - 2
      - 0
    .max_flat_workgroup_size: 63
    .name:           _Z33tail_segmented_warp_reduce_kernelIihLj63ELj3EENSt9enable_ifIXsr10test_utilsE35device_test_enabled_for_warp_size_vIXT2_EEEvE4typeEPT_PT0_S4_
    .private_segment_fixed_size: 0
    .sgpr_count:     16
    .sgpr_spill_count: 0
    .symbol:         _Z33tail_segmented_warp_reduce_kernelIihLj63ELj3EENSt9enable_ifIXsr10test_utilsE35device_test_enabled_for_warp_size_vIXT2_EEEvE4typeEPT_PT0_S4_.kd
    .uniform_work_group_size: 1
    .uses_dynamic_stack: false
    .vgpr_count:     10
    .vgpr_spill_count: 0
    .wavefront_size: 64
  - .agpr_count:     0
    .args:
      - .address_space:  global
        .offset:         0
        .size:           8
        .value_kind:     global_buffer
      - .address_space:  global
        .offset:         8
        .size:           8
        .value_kind:     global_buffer
      - .address_space:  global
        .offset:         16
        .size:           8
        .value_kind:     global_buffer
      - .offset:         24
        .size:           4
        .value_kind:     hidden_block_count_x
      - .offset:         28
        .size:           4
        .value_kind:     hidden_block_count_y
      - .offset:         32
        .size:           4
        .value_kind:     hidden_block_count_z
      - .offset:         36
        .size:           2
        .value_kind:     hidden_group_size_x
      - .offset:         38
        .size:           2
        .value_kind:     hidden_group_size_y
      - .offset:         40
        .size:           2
        .value_kind:     hidden_group_size_z
      - .offset:         42
        .size:           2
        .value_kind:     hidden_remainder_x
      - .offset:         44
        .size:           2
        .value_kind:     hidden_remainder_y
      - .offset:         46
        .size:           2
        .value_kind:     hidden_remainder_z
      - .offset:         64
        .size:           8
        .value_kind:     hidden_global_offset_x
      - .offset:         72
        .size:           8
        .value_kind:     hidden_global_offset_y
      - .offset:         80
        .size:           8
        .value_kind:     hidden_global_offset_z
      - .offset:         88
        .size:           2
        .value_kind:     hidden_grid_dims
    .group_segment_fixed_size: 0
    .kernarg_segment_align: 8
    .kernarg_segment_size: 280
    .language:       OpenCL C
    .language_version:
      - 2
      - 0
    .max_flat_workgroup_size: 256
    .name:           _Z33tail_segmented_warp_reduce_kernelI12hip_bfloat16hLj256ELj64EENSt9enable_ifIXsr10test_utilsE35device_test_enabled_for_warp_size_vIXT2_EEEvE4typeEPT_PT0_S5_
    .private_segment_fixed_size: 0
    .sgpr_count:     16
    .sgpr_spill_count: 0
    .symbol:         _Z33tail_segmented_warp_reduce_kernelI12hip_bfloat16hLj256ELj64EENSt9enable_ifIXsr10test_utilsE35device_test_enabled_for_warp_size_vIXT2_EEEvE4typeEPT_PT0_S5_.kd
    .uniform_work_group_size: 1
    .uses_dynamic_stack: false
    .vgpr_count:     10
    .vgpr_spill_count: 0
    .wavefront_size: 64
  - .agpr_count:     0
    .args:
      - .address_space:  global
        .offset:         0
        .size:           8
        .value_kind:     global_buffer
      - .address_space:  global
        .offset:         8
        .size:           8
        .value_kind:     global_buffer
      - .address_space:  global
        .offset:         16
        .size:           8
        .value_kind:     global_buffer
      - .offset:         24
        .size:           4
        .value_kind:     hidden_block_count_x
      - .offset:         28
        .size:           4
        .value_kind:     hidden_block_count_y
      - .offset:         32
        .size:           4
        .value_kind:     hidden_block_count_z
      - .offset:         36
        .size:           2
        .value_kind:     hidden_group_size_x
      - .offset:         38
        .size:           2
        .value_kind:     hidden_group_size_y
      - .offset:         40
        .size:           2
        .value_kind:     hidden_group_size_z
      - .offset:         42
        .size:           2
        .value_kind:     hidden_remainder_x
      - .offset:         44
        .size:           2
        .value_kind:     hidden_remainder_y
      - .offset:         46
        .size:           2
        .value_kind:     hidden_remainder_z
      - .offset:         64
        .size:           8
        .value_kind:     hidden_global_offset_x
      - .offset:         72
        .size:           8
        .value_kind:     hidden_global_offset_y
      - .offset:         80
        .size:           8
        .value_kind:     hidden_global_offset_z
      - .offset:         88
        .size:           2
        .value_kind:     hidden_grid_dims
    .group_segment_fixed_size: 0
    .kernarg_segment_align: 8
    .kernarg_segment_size: 280
    .language:       OpenCL C
    .language_version:
      - 2
      - 0
    .max_flat_workgroup_size: 128
    .name:           _Z33tail_segmented_warp_reduce_kernelI12hip_bfloat16hLj128ELj32EENSt9enable_ifIXsr10test_utilsE35device_test_enabled_for_warp_size_vIXT2_EEEvE4typeEPT_PT0_S5_
    .private_segment_fixed_size: 0
    .sgpr_count:     16
    .sgpr_spill_count: 0
    .symbol:         _Z33tail_segmented_warp_reduce_kernelI12hip_bfloat16hLj128ELj32EENSt9enable_ifIXsr10test_utilsE35device_test_enabled_for_warp_size_vIXT2_EEEvE4typeEPT_PT0_S5_.kd
    .uniform_work_group_size: 1
    .uses_dynamic_stack: false
    .vgpr_count:     10
    .vgpr_spill_count: 0
    .wavefront_size: 64
  - .agpr_count:     0
    .args:
      - .address_space:  global
        .offset:         0
        .size:           8
        .value_kind:     global_buffer
      - .address_space:  global
        .offset:         8
        .size:           8
        .value_kind:     global_buffer
      - .address_space:  global
        .offset:         16
        .size:           8
        .value_kind:     global_buffer
      - .offset:         24
        .size:           4
        .value_kind:     hidden_block_count_x
      - .offset:         28
        .size:           4
        .value_kind:     hidden_block_count_y
      - .offset:         32
        .size:           4
        .value_kind:     hidden_block_count_z
      - .offset:         36
        .size:           2
        .value_kind:     hidden_group_size_x
      - .offset:         38
        .size:           2
        .value_kind:     hidden_group_size_y
      - .offset:         40
        .size:           2
        .value_kind:     hidden_group_size_z
      - .offset:         42
        .size:           2
        .value_kind:     hidden_remainder_x
      - .offset:         44
        .size:           2
        .value_kind:     hidden_remainder_y
      - .offset:         46
        .size:           2
        .value_kind:     hidden_remainder_z
      - .offset:         64
        .size:           8
        .value_kind:     hidden_global_offset_x
      - .offset:         72
        .size:           8
        .value_kind:     hidden_global_offset_y
      - .offset:         80
        .size:           8
        .value_kind:     hidden_global_offset_z
      - .offset:         88
        .size:           2
        .value_kind:     hidden_grid_dims
    .group_segment_fixed_size: 0
    .kernarg_segment_align: 8
    .kernarg_segment_size: 280
    .language:       OpenCL C
    .language_version:
      - 2
      - 0
    .max_flat_workgroup_size: 64
    .name:           _Z33tail_segmented_warp_reduce_kernelI12hip_bfloat16hLj64ELj16EENSt9enable_ifIXsr10test_utilsE35device_test_enabled_for_warp_size_vIXT2_EEEvE4typeEPT_PT0_S5_
    .private_segment_fixed_size: 0
    .sgpr_count:     16
    .sgpr_spill_count: 0
    .symbol:         _Z33tail_segmented_warp_reduce_kernelI12hip_bfloat16hLj64ELj16EENSt9enable_ifIXsr10test_utilsE35device_test_enabled_for_warp_size_vIXT2_EEEvE4typeEPT_PT0_S5_.kd
    .uniform_work_group_size: 1
    .uses_dynamic_stack: false
    .vgpr_count:     10
    .vgpr_spill_count: 0
    .wavefront_size: 64
  - .agpr_count:     0
    .args:
      - .address_space:  global
        .offset:         0
        .size:           8
        .value_kind:     global_buffer
      - .address_space:  global
        .offset:         8
        .size:           8
        .value_kind:     global_buffer
      - .address_space:  global
        .offset:         16
        .size:           8
        .value_kind:     global_buffer
      - .offset:         24
        .size:           4
        .value_kind:     hidden_block_count_x
      - .offset:         28
        .size:           4
        .value_kind:     hidden_block_count_y
      - .offset:         32
        .size:           4
        .value_kind:     hidden_block_count_z
      - .offset:         36
        .size:           2
        .value_kind:     hidden_group_size_x
      - .offset:         38
        .size:           2
        .value_kind:     hidden_group_size_y
      - .offset:         40
        .size:           2
        .value_kind:     hidden_group_size_z
      - .offset:         42
        .size:           2
        .value_kind:     hidden_remainder_x
      - .offset:         44
        .size:           2
        .value_kind:     hidden_remainder_y
      - .offset:         46
        .size:           2
        .value_kind:     hidden_remainder_z
      - .offset:         64
        .size:           8
        .value_kind:     hidden_global_offset_x
      - .offset:         72
        .size:           8
        .value_kind:     hidden_global_offset_y
      - .offset:         80
        .size:           8
        .value_kind:     hidden_global_offset_z
      - .offset:         88
        .size:           2
        .value_kind:     hidden_grid_dims
    .group_segment_fixed_size: 0
    .kernarg_segment_align: 8
    .kernarg_segment_size: 280
    .language:       OpenCL C
    .language_version:
      - 2
      - 0
    .max_flat_workgroup_size: 32
    .name:           _Z33tail_segmented_warp_reduce_kernelI12hip_bfloat16hLj32ELj8EENSt9enable_ifIXsr10test_utilsE35device_test_enabled_for_warp_size_vIXT2_EEEvE4typeEPT_PT0_S5_
    .private_segment_fixed_size: 0
    .sgpr_count:     16
    .sgpr_spill_count: 0
    .symbol:         _Z33tail_segmented_warp_reduce_kernelI12hip_bfloat16hLj32ELj8EENSt9enable_ifIXsr10test_utilsE35device_test_enabled_for_warp_size_vIXT2_EEEvE4typeEPT_PT0_S5_.kd
    .uniform_work_group_size: 1
    .uses_dynamic_stack: false
    .vgpr_count:     10
    .vgpr_spill_count: 0
    .wavefront_size: 64
  - .agpr_count:     0
    .args:
      - .address_space:  global
        .offset:         0
        .size:           8
        .value_kind:     global_buffer
      - .address_space:  global
        .offset:         8
        .size:           8
        .value_kind:     global_buffer
      - .address_space:  global
        .offset:         16
        .size:           8
        .value_kind:     global_buffer
      - .offset:         24
        .size:           4
        .value_kind:     hidden_block_count_x
      - .offset:         28
        .size:           4
        .value_kind:     hidden_block_count_y
      - .offset:         32
        .size:           4
        .value_kind:     hidden_block_count_z
      - .offset:         36
        .size:           2
        .value_kind:     hidden_group_size_x
      - .offset:         38
        .size:           2
        .value_kind:     hidden_group_size_y
      - .offset:         40
        .size:           2
        .value_kind:     hidden_group_size_z
      - .offset:         42
        .size:           2
        .value_kind:     hidden_remainder_x
      - .offset:         44
        .size:           2
        .value_kind:     hidden_remainder_y
      - .offset:         46
        .size:           2
        .value_kind:     hidden_remainder_z
      - .offset:         64
        .size:           8
        .value_kind:     hidden_global_offset_x
      - .offset:         72
        .size:           8
        .value_kind:     hidden_global_offset_y
      - .offset:         80
        .size:           8
        .value_kind:     hidden_global_offset_z
      - .offset:         88
        .size:           2
        .value_kind:     hidden_grid_dims
    .group_segment_fixed_size: 0
    .kernarg_segment_align: 8
    .kernarg_segment_size: 280
    .language:       OpenCL C
    .language_version:
      - 2
      - 0
    .max_flat_workgroup_size: 64
    .name:           _Z33tail_segmented_warp_reduce_kernelI12hip_bfloat16hLj64ELj8EENSt9enable_ifIXsr10test_utilsE35device_test_enabled_for_warp_size_vIXT2_EEEvE4typeEPT_PT0_S5_
    .private_segment_fixed_size: 0
    .sgpr_count:     16
    .sgpr_spill_count: 0
    .symbol:         _Z33tail_segmented_warp_reduce_kernelI12hip_bfloat16hLj64ELj8EENSt9enable_ifIXsr10test_utilsE35device_test_enabled_for_warp_size_vIXT2_EEEvE4typeEPT_PT0_S5_.kd
    .uniform_work_group_size: 1
    .uses_dynamic_stack: false
    .vgpr_count:     10
    .vgpr_spill_count: 0
    .wavefront_size: 64
  - .agpr_count:     0
    .args:
      - .address_space:  global
        .offset:         0
        .size:           8
        .value_kind:     global_buffer
      - .address_space:  global
        .offset:         8
        .size:           8
        .value_kind:     global_buffer
      - .address_space:  global
        .offset:         16
        .size:           8
        .value_kind:     global_buffer
      - .offset:         24
        .size:           4
        .value_kind:     hidden_block_count_x
      - .offset:         28
        .size:           4
        .value_kind:     hidden_block_count_y
      - .offset:         32
        .size:           4
        .value_kind:     hidden_block_count_z
      - .offset:         36
        .size:           2
        .value_kind:     hidden_group_size_x
      - .offset:         38
        .size:           2
        .value_kind:     hidden_group_size_y
      - .offset:         40
        .size:           2
        .value_kind:     hidden_group_size_z
      - .offset:         42
        .size:           2
        .value_kind:     hidden_remainder_x
      - .offset:         44
        .size:           2
        .value_kind:     hidden_remainder_y
      - .offset:         46
        .size:           2
        .value_kind:     hidden_remainder_z
      - .offset:         64
        .size:           8
        .value_kind:     hidden_global_offset_x
      - .offset:         72
        .size:           8
        .value_kind:     hidden_global_offset_y
      - .offset:         80
        .size:           8
        .value_kind:     hidden_global_offset_z
      - .offset:         88
        .size:           2
        .value_kind:     hidden_grid_dims
    .group_segment_fixed_size: 0
    .kernarg_segment_align: 8
    .kernarg_segment_size: 280
    .language:       OpenCL C
    .language_version:
      - 2
      - 0
    .max_flat_workgroup_size: 32
    .name:           _Z33tail_segmented_warp_reduce_kernelI12hip_bfloat16hLj32ELj4EENSt9enable_ifIXsr10test_utilsE35device_test_enabled_for_warp_size_vIXT2_EEEvE4typeEPT_PT0_S5_
    .private_segment_fixed_size: 0
    .sgpr_count:     16
    .sgpr_spill_count: 0
    .symbol:         _Z33tail_segmented_warp_reduce_kernelI12hip_bfloat16hLj32ELj4EENSt9enable_ifIXsr10test_utilsE35device_test_enabled_for_warp_size_vIXT2_EEEvE4typeEPT_PT0_S5_.kd
    .uniform_work_group_size: 1
    .uses_dynamic_stack: false
    .vgpr_count:     10
    .vgpr_spill_count: 0
    .wavefront_size: 64
  - .agpr_count:     0
    .args:
      - .address_space:  global
        .offset:         0
        .size:           8
        .value_kind:     global_buffer
      - .address_space:  global
        .offset:         8
        .size:           8
        .value_kind:     global_buffer
      - .address_space:  global
        .offset:         16
        .size:           8
        .value_kind:     global_buffer
      - .offset:         24
        .size:           4
        .value_kind:     hidden_block_count_x
      - .offset:         28
        .size:           4
        .value_kind:     hidden_block_count_y
      - .offset:         32
        .size:           4
        .value_kind:     hidden_block_count_z
      - .offset:         36
        .size:           2
        .value_kind:     hidden_group_size_x
      - .offset:         38
        .size:           2
        .value_kind:     hidden_group_size_y
      - .offset:         40
        .size:           2
        .value_kind:     hidden_group_size_z
      - .offset:         42
        .size:           2
        .value_kind:     hidden_remainder_x
      - .offset:         44
        .size:           2
        .value_kind:     hidden_remainder_y
      - .offset:         46
        .size:           2
        .value_kind:     hidden_remainder_z
      - .offset:         64
        .size:           8
        .value_kind:     hidden_global_offset_x
      - .offset:         72
        .size:           8
        .value_kind:     hidden_global_offset_y
      - .offset:         80
        .size:           8
        .value_kind:     hidden_global_offset_z
      - .offset:         88
        .size:           2
        .value_kind:     hidden_grid_dims
    .group_segment_fixed_size: 0
    .kernarg_segment_align: 8
    .kernarg_segment_size: 280
    .language:       OpenCL C
    .language_version:
      - 2
      - 0
    .max_flat_workgroup_size: 64
    .name:           _Z33tail_segmented_warp_reduce_kernelI12hip_bfloat16hLj64ELj4EENSt9enable_ifIXsr10test_utilsE35device_test_enabled_for_warp_size_vIXT2_EEEvE4typeEPT_PT0_S5_
    .private_segment_fixed_size: 0
    .sgpr_count:     16
    .sgpr_spill_count: 0
    .symbol:         _Z33tail_segmented_warp_reduce_kernelI12hip_bfloat16hLj64ELj4EENSt9enable_ifIXsr10test_utilsE35device_test_enabled_for_warp_size_vIXT2_EEEvE4typeEPT_PT0_S5_.kd
    .uniform_work_group_size: 1
    .uses_dynamic_stack: false
    .vgpr_count:     10
    .vgpr_spill_count: 0
    .wavefront_size: 64
  - .agpr_count:     0
    .args:
      - .address_space:  global
        .offset:         0
        .size:           8
        .value_kind:     global_buffer
      - .address_space:  global
        .offset:         8
        .size:           8
        .value_kind:     global_buffer
      - .address_space:  global
        .offset:         16
        .size:           8
        .value_kind:     global_buffer
      - .offset:         24
        .size:           4
        .value_kind:     hidden_block_count_x
      - .offset:         28
        .size:           4
        .value_kind:     hidden_block_count_y
      - .offset:         32
        .size:           4
        .value_kind:     hidden_block_count_z
      - .offset:         36
        .size:           2
        .value_kind:     hidden_group_size_x
      - .offset:         38
        .size:           2
        .value_kind:     hidden_group_size_y
      - .offset:         40
        .size:           2
        .value_kind:     hidden_group_size_z
      - .offset:         42
        .size:           2
        .value_kind:     hidden_remainder_x
      - .offset:         44
        .size:           2
        .value_kind:     hidden_remainder_y
      - .offset:         46
        .size:           2
        .value_kind:     hidden_remainder_z
      - .offset:         64
        .size:           8
        .value_kind:     hidden_global_offset_x
      - .offset:         72
        .size:           8
        .value_kind:     hidden_global_offset_y
      - .offset:         80
        .size:           8
        .value_kind:     hidden_global_offset_z
      - .offset:         88
        .size:           2
        .value_kind:     hidden_grid_dims
    .group_segment_fixed_size: 0
    .kernarg_segment_align: 8
    .kernarg_segment_size: 280
    .language:       OpenCL C
    .language_version:
      - 2
      - 0
    .max_flat_workgroup_size: 32
    .name:           _Z33tail_segmented_warp_reduce_kernelI12hip_bfloat16hLj32ELj2EENSt9enable_ifIXsr10test_utilsE35device_test_enabled_for_warp_size_vIXT2_EEEvE4typeEPT_PT0_S5_
    .private_segment_fixed_size: 0
    .sgpr_count:     16
    .sgpr_spill_count: 0
    .symbol:         _Z33tail_segmented_warp_reduce_kernelI12hip_bfloat16hLj32ELj2EENSt9enable_ifIXsr10test_utilsE35device_test_enabled_for_warp_size_vIXT2_EEEvE4typeEPT_PT0_S5_.kd
    .uniform_work_group_size: 1
    .uses_dynamic_stack: false
    .vgpr_count:     9
    .vgpr_spill_count: 0
    .wavefront_size: 64
  - .agpr_count:     0
    .args:
      - .address_space:  global
        .offset:         0
        .size:           8
        .value_kind:     global_buffer
      - .address_space:  global
        .offset:         8
        .size:           8
        .value_kind:     global_buffer
      - .address_space:  global
        .offset:         16
        .size:           8
        .value_kind:     global_buffer
      - .offset:         24
        .size:           4
        .value_kind:     hidden_block_count_x
      - .offset:         28
        .size:           4
        .value_kind:     hidden_block_count_y
      - .offset:         32
        .size:           4
        .value_kind:     hidden_block_count_z
      - .offset:         36
        .size:           2
        .value_kind:     hidden_group_size_x
      - .offset:         38
        .size:           2
        .value_kind:     hidden_group_size_y
      - .offset:         40
        .size:           2
        .value_kind:     hidden_group_size_z
      - .offset:         42
        .size:           2
        .value_kind:     hidden_remainder_x
      - .offset:         44
        .size:           2
        .value_kind:     hidden_remainder_y
      - .offset:         46
        .size:           2
        .value_kind:     hidden_remainder_z
      - .offset:         64
        .size:           8
        .value_kind:     hidden_global_offset_x
      - .offset:         72
        .size:           8
        .value_kind:     hidden_global_offset_y
      - .offset:         80
        .size:           8
        .value_kind:     hidden_global_offset_z
      - .offset:         88
        .size:           2
        .value_kind:     hidden_grid_dims
    .group_segment_fixed_size: 0
    .kernarg_segment_align: 8
    .kernarg_segment_size: 280
    .language:       OpenCL C
    .language_version:
      - 2
      - 0
    .max_flat_workgroup_size: 64
    .name:           _Z33tail_segmented_warp_reduce_kernelI12hip_bfloat16hLj64ELj2EENSt9enable_ifIXsr10test_utilsE35device_test_enabled_for_warp_size_vIXT2_EEEvE4typeEPT_PT0_S5_
    .private_segment_fixed_size: 0
    .sgpr_count:     16
    .sgpr_spill_count: 0
    .symbol:         _Z33tail_segmented_warp_reduce_kernelI12hip_bfloat16hLj64ELj2EENSt9enable_ifIXsr10test_utilsE35device_test_enabled_for_warp_size_vIXT2_EEEvE4typeEPT_PT0_S5_.kd
    .uniform_work_group_size: 1
    .uses_dynamic_stack: false
    .vgpr_count:     9
    .vgpr_spill_count: 0
    .wavefront_size: 64
  - .agpr_count:     0
    .args:
      - .address_space:  global
        .offset:         0
        .size:           8
        .value_kind:     global_buffer
      - .address_space:  global
        .offset:         8
        .size:           8
        .value_kind:     global_buffer
      - .address_space:  global
        .offset:         16
        .size:           8
        .value_kind:     global_buffer
      - .offset:         24
        .size:           4
        .value_kind:     hidden_block_count_x
      - .offset:         28
        .size:           4
        .value_kind:     hidden_block_count_y
      - .offset:         32
        .size:           4
        .value_kind:     hidden_block_count_z
      - .offset:         36
        .size:           2
        .value_kind:     hidden_group_size_x
      - .offset:         38
        .size:           2
        .value_kind:     hidden_group_size_y
      - .offset:         40
        .size:           2
        .value_kind:     hidden_group_size_z
      - .offset:         42
        .size:           2
        .value_kind:     hidden_remainder_x
      - .offset:         44
        .size:           2
        .value_kind:     hidden_remainder_y
      - .offset:         46
        .size:           2
        .value_kind:     hidden_remainder_z
      - .offset:         64
        .size:           8
        .value_kind:     hidden_global_offset_x
      - .offset:         72
        .size:           8
        .value_kind:     hidden_global_offset_y
      - .offset:         80
        .size:           8
        .value_kind:     hidden_global_offset_z
      - .offset:         88
        .size:           2
        .value_kind:     hidden_grid_dims
    .group_segment_fixed_size: 0
    .kernarg_segment_align: 8
    .kernarg_segment_size: 280
    .language:       OpenCL C
    .language_version:
      - 2
      - 0
    .max_flat_workgroup_size: 32
    .name:           _Z33tail_segmented_warp_reduce_kernelI12hip_bfloat16hLj32ELj1EENSt9enable_ifIXsr10test_utilsE35device_test_enabled_for_warp_size_vIXT2_EEEvE4typeEPT_PT0_S5_
    .private_segment_fixed_size: 0
    .sgpr_count:     12
    .sgpr_spill_count: 0
    .symbol:         _Z33tail_segmented_warp_reduce_kernelI12hip_bfloat16hLj32ELj1EENSt9enable_ifIXsr10test_utilsE35device_test_enabled_for_warp_size_vIXT2_EEEvE4typeEPT_PT0_S5_.kd
    .uniform_work_group_size: 1
    .uses_dynamic_stack: false
    .vgpr_count:     4
    .vgpr_spill_count: 0
    .wavefront_size: 64
  - .agpr_count:     0
    .args:
      - .address_space:  global
        .offset:         0
        .size:           8
        .value_kind:     global_buffer
      - .address_space:  global
        .offset:         8
        .size:           8
        .value_kind:     global_buffer
      - .address_space:  global
        .offset:         16
        .size:           8
        .value_kind:     global_buffer
      - .offset:         24
        .size:           4
        .value_kind:     hidden_block_count_x
      - .offset:         28
        .size:           4
        .value_kind:     hidden_block_count_y
      - .offset:         32
        .size:           4
        .value_kind:     hidden_block_count_z
      - .offset:         36
        .size:           2
        .value_kind:     hidden_group_size_x
      - .offset:         38
        .size:           2
        .value_kind:     hidden_group_size_y
      - .offset:         40
        .size:           2
        .value_kind:     hidden_group_size_z
      - .offset:         42
        .size:           2
        .value_kind:     hidden_remainder_x
      - .offset:         44
        .size:           2
        .value_kind:     hidden_remainder_y
      - .offset:         46
        .size:           2
        .value_kind:     hidden_remainder_z
      - .offset:         64
        .size:           8
        .value_kind:     hidden_global_offset_x
      - .offset:         72
        .size:           8
        .value_kind:     hidden_global_offset_y
      - .offset:         80
        .size:           8
        .value_kind:     hidden_global_offset_z
      - .offset:         88
        .size:           2
        .value_kind:     hidden_grid_dims
    .group_segment_fixed_size: 0
    .kernarg_segment_align: 8
    .kernarg_segment_size: 280
    .language:       OpenCL C
    .language_version:
      - 2
      - 0
    .max_flat_workgroup_size: 64
    .name:           _Z33tail_segmented_warp_reduce_kernelI12hip_bfloat16hLj64ELj1EENSt9enable_ifIXsr10test_utilsE35device_test_enabled_for_warp_size_vIXT2_EEEvE4typeEPT_PT0_S5_
    .private_segment_fixed_size: 0
    .sgpr_count:     12
    .sgpr_spill_count: 0
    .symbol:         _Z33tail_segmented_warp_reduce_kernelI12hip_bfloat16hLj64ELj1EENSt9enable_ifIXsr10test_utilsE35device_test_enabled_for_warp_size_vIXT2_EEEvE4typeEPT_PT0_S5_.kd
    .uniform_work_group_size: 1
    .uses_dynamic_stack: false
    .vgpr_count:     4
    .vgpr_spill_count: 0
    .wavefront_size: 64
  - .agpr_count:     0
    .args:
      - .address_space:  global
        .offset:         0
        .size:           8
        .value_kind:     global_buffer
      - .address_space:  global
        .offset:         8
        .size:           8
        .value_kind:     global_buffer
      - .address_space:  global
        .offset:         16
        .size:           8
        .value_kind:     global_buffer
      - .offset:         24
        .size:           4
        .value_kind:     hidden_block_count_x
      - .offset:         28
        .size:           4
        .value_kind:     hidden_block_count_y
      - .offset:         32
        .size:           4
        .value_kind:     hidden_block_count_z
      - .offset:         36
        .size:           2
        .value_kind:     hidden_group_size_x
      - .offset:         38
        .size:           2
        .value_kind:     hidden_group_size_y
      - .offset:         40
        .size:           2
        .value_kind:     hidden_group_size_z
      - .offset:         42
        .size:           2
        .value_kind:     hidden_remainder_x
      - .offset:         44
        .size:           2
        .value_kind:     hidden_remainder_y
      - .offset:         46
        .size:           2
        .value_kind:     hidden_remainder_z
      - .offset:         64
        .size:           8
        .value_kind:     hidden_global_offset_x
      - .offset:         72
        .size:           8
        .value_kind:     hidden_global_offset_y
      - .offset:         80
        .size:           8
        .value_kind:     hidden_global_offset_z
      - .offset:         88
        .size:           2
        .value_kind:     hidden_grid_dims
    .group_segment_fixed_size: 0
    .kernarg_segment_align: 8
    .kernarg_segment_size: 280
    .language:       OpenCL C
    .language_version:
      - 2
      - 0
    .max_flat_workgroup_size: 256
    .name:           _Z33tail_segmented_warp_reduce_kernelI6__halfhLj256ELj64EENSt9enable_ifIXsr10test_utilsE35device_test_enabled_for_warp_size_vIXT2_EEEvE4typeEPT_PT0_S5_
    .private_segment_fixed_size: 0
    .sgpr_count:     18
    .sgpr_spill_count: 0
    .symbol:         _Z33tail_segmented_warp_reduce_kernelI6__halfhLj256ELj64EENSt9enable_ifIXsr10test_utilsE35device_test_enabled_for_warp_size_vIXT2_EEEvE4typeEPT_PT0_S5_.kd
    .uniform_work_group_size: 1
    .uses_dynamic_stack: false
    .vgpr_count:     18
    .vgpr_spill_count: 0
    .wavefront_size: 64
  - .agpr_count:     0
    .args:
      - .address_space:  global
        .offset:         0
        .size:           8
        .value_kind:     global_buffer
      - .address_space:  global
        .offset:         8
        .size:           8
        .value_kind:     global_buffer
      - .address_space:  global
        .offset:         16
        .size:           8
        .value_kind:     global_buffer
      - .offset:         24
        .size:           4
        .value_kind:     hidden_block_count_x
      - .offset:         28
        .size:           4
        .value_kind:     hidden_block_count_y
      - .offset:         32
        .size:           4
        .value_kind:     hidden_block_count_z
      - .offset:         36
        .size:           2
        .value_kind:     hidden_group_size_x
      - .offset:         38
        .size:           2
        .value_kind:     hidden_group_size_y
      - .offset:         40
        .size:           2
        .value_kind:     hidden_group_size_z
      - .offset:         42
        .size:           2
        .value_kind:     hidden_remainder_x
      - .offset:         44
        .size:           2
        .value_kind:     hidden_remainder_y
      - .offset:         46
        .size:           2
        .value_kind:     hidden_remainder_z
      - .offset:         64
        .size:           8
        .value_kind:     hidden_global_offset_x
      - .offset:         72
        .size:           8
        .value_kind:     hidden_global_offset_y
      - .offset:         80
        .size:           8
        .value_kind:     hidden_global_offset_z
      - .offset:         88
        .size:           2
        .value_kind:     hidden_grid_dims
    .group_segment_fixed_size: 0
    .kernarg_segment_align: 8
    .kernarg_segment_size: 280
    .language:       OpenCL C
    .language_version:
      - 2
      - 0
    .max_flat_workgroup_size: 128
    .name:           _Z33tail_segmented_warp_reduce_kernelI6__halfhLj128ELj32EENSt9enable_ifIXsr10test_utilsE35device_test_enabled_for_warp_size_vIXT2_EEEvE4typeEPT_PT0_S5_
    .private_segment_fixed_size: 0
    .sgpr_count:     14
    .sgpr_spill_count: 0
    .symbol:         _Z33tail_segmented_warp_reduce_kernelI6__halfhLj128ELj32EENSt9enable_ifIXsr10test_utilsE35device_test_enabled_for_warp_size_vIXT2_EEEvE4typeEPT_PT0_S5_.kd
    .uniform_work_group_size: 1
    .uses_dynamic_stack: false
    .vgpr_count:     15
    .vgpr_spill_count: 0
    .wavefront_size: 64
  - .agpr_count:     0
    .args:
      - .address_space:  global
        .offset:         0
        .size:           8
        .value_kind:     global_buffer
      - .address_space:  global
        .offset:         8
        .size:           8
        .value_kind:     global_buffer
      - .address_space:  global
        .offset:         16
        .size:           8
        .value_kind:     global_buffer
      - .offset:         24
        .size:           4
        .value_kind:     hidden_block_count_x
      - .offset:         28
        .size:           4
        .value_kind:     hidden_block_count_y
      - .offset:         32
        .size:           4
        .value_kind:     hidden_block_count_z
      - .offset:         36
        .size:           2
        .value_kind:     hidden_group_size_x
      - .offset:         38
        .size:           2
        .value_kind:     hidden_group_size_y
      - .offset:         40
        .size:           2
        .value_kind:     hidden_group_size_z
      - .offset:         42
        .size:           2
        .value_kind:     hidden_remainder_x
      - .offset:         44
        .size:           2
        .value_kind:     hidden_remainder_y
      - .offset:         46
        .size:           2
        .value_kind:     hidden_remainder_z
      - .offset:         64
        .size:           8
        .value_kind:     hidden_global_offset_x
      - .offset:         72
        .size:           8
        .value_kind:     hidden_global_offset_y
      - .offset:         80
        .size:           8
        .value_kind:     hidden_global_offset_z
      - .offset:         88
        .size:           2
        .value_kind:     hidden_grid_dims
    .group_segment_fixed_size: 0
    .kernarg_segment_align: 8
    .kernarg_segment_size: 280
    .language:       OpenCL C
    .language_version:
      - 2
      - 0
    .max_flat_workgroup_size: 64
    .name:           _Z33tail_segmented_warp_reduce_kernelI6__halfhLj64ELj16EENSt9enable_ifIXsr10test_utilsE35device_test_enabled_for_warp_size_vIXT2_EEEvE4typeEPT_PT0_S5_
    .private_segment_fixed_size: 0
    .sgpr_count:     14
    .sgpr_spill_count: 0
    .symbol:         _Z33tail_segmented_warp_reduce_kernelI6__halfhLj64ELj16EENSt9enable_ifIXsr10test_utilsE35device_test_enabled_for_warp_size_vIXT2_EEEvE4typeEPT_PT0_S5_.kd
    .uniform_work_group_size: 1
    .uses_dynamic_stack: false
    .vgpr_count:     14
    .vgpr_spill_count: 0
    .wavefront_size: 64
  - .agpr_count:     0
    .args:
      - .address_space:  global
        .offset:         0
        .size:           8
        .value_kind:     global_buffer
      - .address_space:  global
        .offset:         8
        .size:           8
        .value_kind:     global_buffer
      - .address_space:  global
        .offset:         16
        .size:           8
        .value_kind:     global_buffer
      - .offset:         24
        .size:           4
        .value_kind:     hidden_block_count_x
      - .offset:         28
        .size:           4
        .value_kind:     hidden_block_count_y
      - .offset:         32
        .size:           4
        .value_kind:     hidden_block_count_z
      - .offset:         36
        .size:           2
        .value_kind:     hidden_group_size_x
      - .offset:         38
        .size:           2
        .value_kind:     hidden_group_size_y
      - .offset:         40
        .size:           2
        .value_kind:     hidden_group_size_z
      - .offset:         42
        .size:           2
        .value_kind:     hidden_remainder_x
      - .offset:         44
        .size:           2
        .value_kind:     hidden_remainder_y
      - .offset:         46
        .size:           2
        .value_kind:     hidden_remainder_z
      - .offset:         64
        .size:           8
        .value_kind:     hidden_global_offset_x
      - .offset:         72
        .size:           8
        .value_kind:     hidden_global_offset_y
      - .offset:         80
        .size:           8
        .value_kind:     hidden_global_offset_z
      - .offset:         88
        .size:           2
        .value_kind:     hidden_grid_dims
    .group_segment_fixed_size: 0
    .kernarg_segment_align: 8
    .kernarg_segment_size: 280
    .language:       OpenCL C
    .language_version:
      - 2
      - 0
    .max_flat_workgroup_size: 32
    .name:           _Z33tail_segmented_warp_reduce_kernelI6__halfhLj32ELj8EENSt9enable_ifIXsr10test_utilsE35device_test_enabled_for_warp_size_vIXT2_EEEvE4typeEPT_PT0_S5_
    .private_segment_fixed_size: 0
    .sgpr_count:     16
    .sgpr_spill_count: 0
    .symbol:         _Z33tail_segmented_warp_reduce_kernelI6__halfhLj32ELj8EENSt9enable_ifIXsr10test_utilsE35device_test_enabled_for_warp_size_vIXT2_EEEvE4typeEPT_PT0_S5_.kd
    .uniform_work_group_size: 1
    .uses_dynamic_stack: false
    .vgpr_count:     13
    .vgpr_spill_count: 0
    .wavefront_size: 64
  - .agpr_count:     0
    .args:
      - .address_space:  global
        .offset:         0
        .size:           8
        .value_kind:     global_buffer
      - .address_space:  global
        .offset:         8
        .size:           8
        .value_kind:     global_buffer
      - .address_space:  global
        .offset:         16
        .size:           8
        .value_kind:     global_buffer
      - .offset:         24
        .size:           4
        .value_kind:     hidden_block_count_x
      - .offset:         28
        .size:           4
        .value_kind:     hidden_block_count_y
      - .offset:         32
        .size:           4
        .value_kind:     hidden_block_count_z
      - .offset:         36
        .size:           2
        .value_kind:     hidden_group_size_x
      - .offset:         38
        .size:           2
        .value_kind:     hidden_group_size_y
      - .offset:         40
        .size:           2
        .value_kind:     hidden_group_size_z
      - .offset:         42
        .size:           2
        .value_kind:     hidden_remainder_x
      - .offset:         44
        .size:           2
        .value_kind:     hidden_remainder_y
      - .offset:         46
        .size:           2
        .value_kind:     hidden_remainder_z
      - .offset:         64
        .size:           8
        .value_kind:     hidden_global_offset_x
      - .offset:         72
        .size:           8
        .value_kind:     hidden_global_offset_y
      - .offset:         80
        .size:           8
        .value_kind:     hidden_global_offset_z
      - .offset:         88
        .size:           2
        .value_kind:     hidden_grid_dims
    .group_segment_fixed_size: 0
    .kernarg_segment_align: 8
    .kernarg_segment_size: 280
    .language:       OpenCL C
    .language_version:
      - 2
      - 0
    .max_flat_workgroup_size: 64
    .name:           _Z33tail_segmented_warp_reduce_kernelI6__halfhLj64ELj8EENSt9enable_ifIXsr10test_utilsE35device_test_enabled_for_warp_size_vIXT2_EEEvE4typeEPT_PT0_S5_
    .private_segment_fixed_size: 0
    .sgpr_count:     16
    .sgpr_spill_count: 0
    .symbol:         _Z33tail_segmented_warp_reduce_kernelI6__halfhLj64ELj8EENSt9enable_ifIXsr10test_utilsE35device_test_enabled_for_warp_size_vIXT2_EEEvE4typeEPT_PT0_S5_.kd
    .uniform_work_group_size: 1
    .uses_dynamic_stack: false
    .vgpr_count:     13
    .vgpr_spill_count: 0
    .wavefront_size: 64
  - .agpr_count:     0
    .args:
      - .address_space:  global
        .offset:         0
        .size:           8
        .value_kind:     global_buffer
      - .address_space:  global
        .offset:         8
        .size:           8
        .value_kind:     global_buffer
      - .address_space:  global
        .offset:         16
        .size:           8
        .value_kind:     global_buffer
      - .offset:         24
        .size:           4
        .value_kind:     hidden_block_count_x
      - .offset:         28
        .size:           4
        .value_kind:     hidden_block_count_y
      - .offset:         32
        .size:           4
        .value_kind:     hidden_block_count_z
      - .offset:         36
        .size:           2
        .value_kind:     hidden_group_size_x
      - .offset:         38
        .size:           2
        .value_kind:     hidden_group_size_y
      - .offset:         40
        .size:           2
        .value_kind:     hidden_group_size_z
      - .offset:         42
        .size:           2
        .value_kind:     hidden_remainder_x
      - .offset:         44
        .size:           2
        .value_kind:     hidden_remainder_y
      - .offset:         46
        .size:           2
        .value_kind:     hidden_remainder_z
      - .offset:         64
        .size:           8
        .value_kind:     hidden_global_offset_x
      - .offset:         72
        .size:           8
        .value_kind:     hidden_global_offset_y
      - .offset:         80
        .size:           8
        .value_kind:     hidden_global_offset_z
      - .offset:         88
        .size:           2
        .value_kind:     hidden_grid_dims
    .group_segment_fixed_size: 0
    .kernarg_segment_align: 8
    .kernarg_segment_size: 280
    .language:       OpenCL C
    .language_version:
      - 2
      - 0
    .max_flat_workgroup_size: 32
    .name:           _Z33tail_segmented_warp_reduce_kernelI6__halfhLj32ELj4EENSt9enable_ifIXsr10test_utilsE35device_test_enabled_for_warp_size_vIXT2_EEEvE4typeEPT_PT0_S5_
    .private_segment_fixed_size: 0
    .sgpr_count:     14
    .sgpr_spill_count: 0
    .symbol:         _Z33tail_segmented_warp_reduce_kernelI6__halfhLj32ELj4EENSt9enable_ifIXsr10test_utilsE35device_test_enabled_for_warp_size_vIXT2_EEEvE4typeEPT_PT0_S5_.kd
    .uniform_work_group_size: 1
    .uses_dynamic_stack: false
    .vgpr_count:     11
    .vgpr_spill_count: 0
    .wavefront_size: 64
  - .agpr_count:     0
    .args:
      - .address_space:  global
        .offset:         0
        .size:           8
        .value_kind:     global_buffer
      - .address_space:  global
        .offset:         8
        .size:           8
        .value_kind:     global_buffer
      - .address_space:  global
        .offset:         16
        .size:           8
        .value_kind:     global_buffer
      - .offset:         24
        .size:           4
        .value_kind:     hidden_block_count_x
      - .offset:         28
        .size:           4
        .value_kind:     hidden_block_count_y
      - .offset:         32
        .size:           4
        .value_kind:     hidden_block_count_z
      - .offset:         36
        .size:           2
        .value_kind:     hidden_group_size_x
      - .offset:         38
        .size:           2
        .value_kind:     hidden_group_size_y
      - .offset:         40
        .size:           2
        .value_kind:     hidden_group_size_z
      - .offset:         42
        .size:           2
        .value_kind:     hidden_remainder_x
      - .offset:         44
        .size:           2
        .value_kind:     hidden_remainder_y
      - .offset:         46
        .size:           2
        .value_kind:     hidden_remainder_z
      - .offset:         64
        .size:           8
        .value_kind:     hidden_global_offset_x
      - .offset:         72
        .size:           8
        .value_kind:     hidden_global_offset_y
      - .offset:         80
        .size:           8
        .value_kind:     hidden_global_offset_z
      - .offset:         88
        .size:           2
        .value_kind:     hidden_grid_dims
    .group_segment_fixed_size: 0
    .kernarg_segment_align: 8
    .kernarg_segment_size: 280
    .language:       OpenCL C
    .language_version:
      - 2
      - 0
    .max_flat_workgroup_size: 64
    .name:           _Z33tail_segmented_warp_reduce_kernelI6__halfhLj64ELj4EENSt9enable_ifIXsr10test_utilsE35device_test_enabled_for_warp_size_vIXT2_EEEvE4typeEPT_PT0_S5_
    .private_segment_fixed_size: 0
    .sgpr_count:     14
    .sgpr_spill_count: 0
    .symbol:         _Z33tail_segmented_warp_reduce_kernelI6__halfhLj64ELj4EENSt9enable_ifIXsr10test_utilsE35device_test_enabled_for_warp_size_vIXT2_EEEvE4typeEPT_PT0_S5_.kd
    .uniform_work_group_size: 1
    .uses_dynamic_stack: false
    .vgpr_count:     11
    .vgpr_spill_count: 0
    .wavefront_size: 64
  - .agpr_count:     0
    .args:
      - .address_space:  global
        .offset:         0
        .size:           8
        .value_kind:     global_buffer
      - .address_space:  global
        .offset:         8
        .size:           8
        .value_kind:     global_buffer
      - .address_space:  global
        .offset:         16
        .size:           8
        .value_kind:     global_buffer
      - .offset:         24
        .size:           4
        .value_kind:     hidden_block_count_x
      - .offset:         28
        .size:           4
        .value_kind:     hidden_block_count_y
      - .offset:         32
        .size:           4
        .value_kind:     hidden_block_count_z
      - .offset:         36
        .size:           2
        .value_kind:     hidden_group_size_x
      - .offset:         38
        .size:           2
        .value_kind:     hidden_group_size_y
      - .offset:         40
        .size:           2
        .value_kind:     hidden_group_size_z
      - .offset:         42
        .size:           2
        .value_kind:     hidden_remainder_x
      - .offset:         44
        .size:           2
        .value_kind:     hidden_remainder_y
      - .offset:         46
        .size:           2
        .value_kind:     hidden_remainder_z
      - .offset:         64
        .size:           8
        .value_kind:     hidden_global_offset_x
      - .offset:         72
        .size:           8
        .value_kind:     hidden_global_offset_y
      - .offset:         80
        .size:           8
        .value_kind:     hidden_global_offset_z
      - .offset:         88
        .size:           2
        .value_kind:     hidden_grid_dims
    .group_segment_fixed_size: 0
    .kernarg_segment_align: 8
    .kernarg_segment_size: 280
    .language:       OpenCL C
    .language_version:
      - 2
      - 0
    .max_flat_workgroup_size: 32
    .name:           _Z33tail_segmented_warp_reduce_kernelI6__halfhLj32ELj2EENSt9enable_ifIXsr10test_utilsE35device_test_enabled_for_warp_size_vIXT2_EEEvE4typeEPT_PT0_S5_
    .private_segment_fixed_size: 0
    .sgpr_count:     14
    .sgpr_spill_count: 0
    .symbol:         _Z33tail_segmented_warp_reduce_kernelI6__halfhLj32ELj2EENSt9enable_ifIXsr10test_utilsE35device_test_enabled_for_warp_size_vIXT2_EEEvE4typeEPT_PT0_S5_.kd
    .uniform_work_group_size: 1
    .uses_dynamic_stack: false
    .vgpr_count:     10
    .vgpr_spill_count: 0
    .wavefront_size: 64
  - .agpr_count:     0
    .args:
      - .address_space:  global
        .offset:         0
        .size:           8
        .value_kind:     global_buffer
      - .address_space:  global
        .offset:         8
        .size:           8
        .value_kind:     global_buffer
      - .address_space:  global
        .offset:         16
        .size:           8
        .value_kind:     global_buffer
      - .offset:         24
        .size:           4
        .value_kind:     hidden_block_count_x
      - .offset:         28
        .size:           4
        .value_kind:     hidden_block_count_y
      - .offset:         32
        .size:           4
        .value_kind:     hidden_block_count_z
      - .offset:         36
        .size:           2
        .value_kind:     hidden_group_size_x
      - .offset:         38
        .size:           2
        .value_kind:     hidden_group_size_y
      - .offset:         40
        .size:           2
        .value_kind:     hidden_group_size_z
      - .offset:         42
        .size:           2
        .value_kind:     hidden_remainder_x
      - .offset:         44
        .size:           2
        .value_kind:     hidden_remainder_y
      - .offset:         46
        .size:           2
        .value_kind:     hidden_remainder_z
      - .offset:         64
        .size:           8
        .value_kind:     hidden_global_offset_x
      - .offset:         72
        .size:           8
        .value_kind:     hidden_global_offset_y
      - .offset:         80
        .size:           8
        .value_kind:     hidden_global_offset_z
      - .offset:         88
        .size:           2
        .value_kind:     hidden_grid_dims
    .group_segment_fixed_size: 0
    .kernarg_segment_align: 8
    .kernarg_segment_size: 280
    .language:       OpenCL C
    .language_version:
      - 2
      - 0
    .max_flat_workgroup_size: 64
    .name:           _Z33tail_segmented_warp_reduce_kernelI6__halfhLj64ELj2EENSt9enable_ifIXsr10test_utilsE35device_test_enabled_for_warp_size_vIXT2_EEEvE4typeEPT_PT0_S5_
    .private_segment_fixed_size: 0
    .sgpr_count:     14
    .sgpr_spill_count: 0
    .symbol:         _Z33tail_segmented_warp_reduce_kernelI6__halfhLj64ELj2EENSt9enable_ifIXsr10test_utilsE35device_test_enabled_for_warp_size_vIXT2_EEEvE4typeEPT_PT0_S5_.kd
    .uniform_work_group_size: 1
    .uses_dynamic_stack: false
    .vgpr_count:     10
    .vgpr_spill_count: 0
    .wavefront_size: 64
  - .agpr_count:     0
    .args:
      - .address_space:  global
        .offset:         0
        .size:           8
        .value_kind:     global_buffer
      - .address_space:  global
        .offset:         8
        .size:           8
        .value_kind:     global_buffer
      - .address_space:  global
        .offset:         16
        .size:           8
        .value_kind:     global_buffer
      - .offset:         24
        .size:           4
        .value_kind:     hidden_block_count_x
      - .offset:         28
        .size:           4
        .value_kind:     hidden_block_count_y
      - .offset:         32
        .size:           4
        .value_kind:     hidden_block_count_z
      - .offset:         36
        .size:           2
        .value_kind:     hidden_group_size_x
      - .offset:         38
        .size:           2
        .value_kind:     hidden_group_size_y
      - .offset:         40
        .size:           2
        .value_kind:     hidden_group_size_z
      - .offset:         42
        .size:           2
        .value_kind:     hidden_remainder_x
      - .offset:         44
        .size:           2
        .value_kind:     hidden_remainder_y
      - .offset:         46
        .size:           2
        .value_kind:     hidden_remainder_z
      - .offset:         64
        .size:           8
        .value_kind:     hidden_global_offset_x
      - .offset:         72
        .size:           8
        .value_kind:     hidden_global_offset_y
      - .offset:         80
        .size:           8
        .value_kind:     hidden_global_offset_z
      - .offset:         88
        .size:           2
        .value_kind:     hidden_grid_dims
    .group_segment_fixed_size: 0
    .kernarg_segment_align: 8
    .kernarg_segment_size: 280
    .language:       OpenCL C
    .language_version:
      - 2
      - 0
    .max_flat_workgroup_size: 32
    .name:           _Z33tail_segmented_warp_reduce_kernelI6__halfhLj32ELj1EENSt9enable_ifIXsr10test_utilsE35device_test_enabled_for_warp_size_vIXT2_EEEvE4typeEPT_PT0_S5_
    .private_segment_fixed_size: 0
    .sgpr_count:     12
    .sgpr_spill_count: 0
    .symbol:         _Z33tail_segmented_warp_reduce_kernelI6__halfhLj32ELj1EENSt9enable_ifIXsr10test_utilsE35device_test_enabled_for_warp_size_vIXT2_EEEvE4typeEPT_PT0_S5_.kd
    .uniform_work_group_size: 1
    .uses_dynamic_stack: false
    .vgpr_count:     4
    .vgpr_spill_count: 0
    .wavefront_size: 64
  - .agpr_count:     0
    .args:
      - .address_space:  global
        .offset:         0
        .size:           8
        .value_kind:     global_buffer
      - .address_space:  global
        .offset:         8
        .size:           8
        .value_kind:     global_buffer
      - .address_space:  global
        .offset:         16
        .size:           8
        .value_kind:     global_buffer
      - .offset:         24
        .size:           4
        .value_kind:     hidden_block_count_x
      - .offset:         28
        .size:           4
        .value_kind:     hidden_block_count_y
      - .offset:         32
        .size:           4
        .value_kind:     hidden_block_count_z
      - .offset:         36
        .size:           2
        .value_kind:     hidden_group_size_x
      - .offset:         38
        .size:           2
        .value_kind:     hidden_group_size_y
      - .offset:         40
        .size:           2
        .value_kind:     hidden_group_size_z
      - .offset:         42
        .size:           2
        .value_kind:     hidden_remainder_x
      - .offset:         44
        .size:           2
        .value_kind:     hidden_remainder_y
      - .offset:         46
        .size:           2
        .value_kind:     hidden_remainder_z
      - .offset:         64
        .size:           8
        .value_kind:     hidden_global_offset_x
      - .offset:         72
        .size:           8
        .value_kind:     hidden_global_offset_y
      - .offset:         80
        .size:           8
        .value_kind:     hidden_global_offset_z
      - .offset:         88
        .size:           2
        .value_kind:     hidden_grid_dims
    .group_segment_fixed_size: 0
    .kernarg_segment_align: 8
    .kernarg_segment_size: 280
    .language:       OpenCL C
    .language_version:
      - 2
      - 0
    .max_flat_workgroup_size: 64
    .name:           _Z33tail_segmented_warp_reduce_kernelI6__halfhLj64ELj1EENSt9enable_ifIXsr10test_utilsE35device_test_enabled_for_warp_size_vIXT2_EEEvE4typeEPT_PT0_S5_
    .private_segment_fixed_size: 0
    .sgpr_count:     12
    .sgpr_spill_count: 0
    .symbol:         _Z33tail_segmented_warp_reduce_kernelI6__halfhLj64ELj1EENSt9enable_ifIXsr10test_utilsE35device_test_enabled_for_warp_size_vIXT2_EEEvE4typeEPT_PT0_S5_.kd
    .uniform_work_group_size: 1
    .uses_dynamic_stack: false
    .vgpr_count:     4
    .vgpr_spill_count: 0
    .wavefront_size: 64
  - .agpr_count:     0
    .args:
      - .address_space:  global
        .offset:         0
        .size:           8
        .value_kind:     global_buffer
      - .address_space:  global
        .offset:         8
        .size:           8
        .value_kind:     global_buffer
      - .address_space:  global
        .offset:         16
        .size:           8
        .value_kind:     global_buffer
      - .offset:         24
        .size:           4
        .value_kind:     hidden_block_count_x
      - .offset:         28
        .size:           4
        .value_kind:     hidden_block_count_y
      - .offset:         32
        .size:           4
        .value_kind:     hidden_block_count_z
      - .offset:         36
        .size:           2
        .value_kind:     hidden_group_size_x
      - .offset:         38
        .size:           2
        .value_kind:     hidden_group_size_y
      - .offset:         40
        .size:           2
        .value_kind:     hidden_group_size_z
      - .offset:         42
        .size:           2
        .value_kind:     hidden_remainder_x
      - .offset:         44
        .size:           2
        .value_kind:     hidden_remainder_y
      - .offset:         46
        .size:           2
        .value_kind:     hidden_remainder_z
      - .offset:         64
        .size:           8
        .value_kind:     hidden_global_offset_x
      - .offset:         72
        .size:           8
        .value_kind:     hidden_global_offset_y
      - .offset:         80
        .size:           8
        .value_kind:     hidden_global_offset_z
      - .offset:         88
        .size:           2
        .value_kind:     hidden_grid_dims
    .group_segment_fixed_size: 0
    .kernarg_segment_align: 8
    .kernarg_segment_size: 280
    .language:       OpenCL C
    .language_version:
      - 2
      - 0
    .max_flat_workgroup_size: 256
    .name:           _Z33tail_segmented_warp_reduce_kernelIfhLj256ELj64EENSt9enable_ifIXsr10test_utilsE35device_test_enabled_for_warp_size_vIXT2_EEEvE4typeEPT_PT0_S4_
    .private_segment_fixed_size: 0
    .sgpr_count:     16
    .sgpr_spill_count: 0
    .symbol:         _Z33tail_segmented_warp_reduce_kernelIfhLj256ELj64EENSt9enable_ifIXsr10test_utilsE35device_test_enabled_for_warp_size_vIXT2_EEEvE4typeEPT_PT0_S4_.kd
    .uniform_work_group_size: 1
    .uses_dynamic_stack: false
    .vgpr_count:     15
    .vgpr_spill_count: 0
    .wavefront_size: 64
  - .agpr_count:     0
    .args:
      - .address_space:  global
        .offset:         0
        .size:           8
        .value_kind:     global_buffer
      - .address_space:  global
        .offset:         8
        .size:           8
        .value_kind:     global_buffer
      - .address_space:  global
        .offset:         16
        .size:           8
        .value_kind:     global_buffer
      - .offset:         24
        .size:           4
        .value_kind:     hidden_block_count_x
      - .offset:         28
        .size:           4
        .value_kind:     hidden_block_count_y
      - .offset:         32
        .size:           4
        .value_kind:     hidden_block_count_z
      - .offset:         36
        .size:           2
        .value_kind:     hidden_group_size_x
      - .offset:         38
        .size:           2
        .value_kind:     hidden_group_size_y
      - .offset:         40
        .size:           2
        .value_kind:     hidden_group_size_z
      - .offset:         42
        .size:           2
        .value_kind:     hidden_remainder_x
      - .offset:         44
        .size:           2
        .value_kind:     hidden_remainder_y
      - .offset:         46
        .size:           2
        .value_kind:     hidden_remainder_z
      - .offset:         64
        .size:           8
        .value_kind:     hidden_global_offset_x
      - .offset:         72
        .size:           8
        .value_kind:     hidden_global_offset_y
      - .offset:         80
        .size:           8
        .value_kind:     hidden_global_offset_z
      - .offset:         88
        .size:           2
        .value_kind:     hidden_grid_dims
    .group_segment_fixed_size: 0
    .kernarg_segment_align: 8
    .kernarg_segment_size: 280
    .language:       OpenCL C
    .language_version:
      - 2
      - 0
    .max_flat_workgroup_size: 128
    .name:           _Z33tail_segmented_warp_reduce_kernelIfhLj128ELj32EENSt9enable_ifIXsr10test_utilsE35device_test_enabled_for_warp_size_vIXT2_EEEvE4typeEPT_PT0_S4_
    .private_segment_fixed_size: 0
    .sgpr_count:     14
    .sgpr_spill_count: 0
    .symbol:         _Z33tail_segmented_warp_reduce_kernelIfhLj128ELj32EENSt9enable_ifIXsr10test_utilsE35device_test_enabled_for_warp_size_vIXT2_EEEvE4typeEPT_PT0_S4_.kd
    .uniform_work_group_size: 1
    .uses_dynamic_stack: false
    .vgpr_count:     13
    .vgpr_spill_count: 0
    .wavefront_size: 64
  - .agpr_count:     0
    .args:
      - .address_space:  global
        .offset:         0
        .size:           8
        .value_kind:     global_buffer
      - .address_space:  global
        .offset:         8
        .size:           8
        .value_kind:     global_buffer
      - .address_space:  global
        .offset:         16
        .size:           8
        .value_kind:     global_buffer
      - .offset:         24
        .size:           4
        .value_kind:     hidden_block_count_x
      - .offset:         28
        .size:           4
        .value_kind:     hidden_block_count_y
      - .offset:         32
        .size:           4
        .value_kind:     hidden_block_count_z
      - .offset:         36
        .size:           2
        .value_kind:     hidden_group_size_x
      - .offset:         38
        .size:           2
        .value_kind:     hidden_group_size_y
      - .offset:         40
        .size:           2
        .value_kind:     hidden_group_size_z
      - .offset:         42
        .size:           2
        .value_kind:     hidden_remainder_x
      - .offset:         44
        .size:           2
        .value_kind:     hidden_remainder_y
      - .offset:         46
        .size:           2
        .value_kind:     hidden_remainder_z
      - .offset:         64
        .size:           8
        .value_kind:     hidden_global_offset_x
      - .offset:         72
        .size:           8
        .value_kind:     hidden_global_offset_y
      - .offset:         80
        .size:           8
        .value_kind:     hidden_global_offset_z
      - .offset:         88
        .size:           2
        .value_kind:     hidden_grid_dims
    .group_segment_fixed_size: 0
    .kernarg_segment_align: 8
    .kernarg_segment_size: 280
    .language:       OpenCL C
    .language_version:
      - 2
      - 0
    .max_flat_workgroup_size: 64
    .name:           _Z33tail_segmented_warp_reduce_kernelIfhLj64ELj16EENSt9enable_ifIXsr10test_utilsE35device_test_enabled_for_warp_size_vIXT2_EEEvE4typeEPT_PT0_S4_
    .private_segment_fixed_size: 0
    .sgpr_count:     16
    .sgpr_spill_count: 0
    .symbol:         _Z33tail_segmented_warp_reduce_kernelIfhLj64ELj16EENSt9enable_ifIXsr10test_utilsE35device_test_enabled_for_warp_size_vIXT2_EEEvE4typeEPT_PT0_S4_.kd
    .uniform_work_group_size: 1
    .uses_dynamic_stack: false
    .vgpr_count:     13
    .vgpr_spill_count: 0
    .wavefront_size: 64
  - .agpr_count:     0
    .args:
      - .address_space:  global
        .offset:         0
        .size:           8
        .value_kind:     global_buffer
      - .address_space:  global
        .offset:         8
        .size:           8
        .value_kind:     global_buffer
      - .address_space:  global
        .offset:         16
        .size:           8
        .value_kind:     global_buffer
      - .offset:         24
        .size:           4
        .value_kind:     hidden_block_count_x
      - .offset:         28
        .size:           4
        .value_kind:     hidden_block_count_y
      - .offset:         32
        .size:           4
        .value_kind:     hidden_block_count_z
      - .offset:         36
        .size:           2
        .value_kind:     hidden_group_size_x
      - .offset:         38
        .size:           2
        .value_kind:     hidden_group_size_y
      - .offset:         40
        .size:           2
        .value_kind:     hidden_group_size_z
      - .offset:         42
        .size:           2
        .value_kind:     hidden_remainder_x
      - .offset:         44
        .size:           2
        .value_kind:     hidden_remainder_y
      - .offset:         46
        .size:           2
        .value_kind:     hidden_remainder_z
      - .offset:         64
        .size:           8
        .value_kind:     hidden_global_offset_x
      - .offset:         72
        .size:           8
        .value_kind:     hidden_global_offset_y
      - .offset:         80
        .size:           8
        .value_kind:     hidden_global_offset_z
      - .offset:         88
        .size:           2
        .value_kind:     hidden_grid_dims
    .group_segment_fixed_size: 0
    .kernarg_segment_align: 8
    .kernarg_segment_size: 280
    .language:       OpenCL C
    .language_version:
      - 2
      - 0
    .max_flat_workgroup_size: 32
    .name:           _Z33tail_segmented_warp_reduce_kernelIfhLj32ELj8EENSt9enable_ifIXsr10test_utilsE35device_test_enabled_for_warp_size_vIXT2_EEEvE4typeEPT_PT0_S4_
    .private_segment_fixed_size: 0
    .sgpr_count:     14
    .sgpr_spill_count: 0
    .symbol:         _Z33tail_segmented_warp_reduce_kernelIfhLj32ELj8EENSt9enable_ifIXsr10test_utilsE35device_test_enabled_for_warp_size_vIXT2_EEEvE4typeEPT_PT0_S4_.kd
    .uniform_work_group_size: 1
    .uses_dynamic_stack: false
    .vgpr_count:     12
    .vgpr_spill_count: 0
    .wavefront_size: 64
  - .agpr_count:     0
    .args:
      - .address_space:  global
        .offset:         0
        .size:           8
        .value_kind:     global_buffer
      - .address_space:  global
        .offset:         8
        .size:           8
        .value_kind:     global_buffer
      - .address_space:  global
        .offset:         16
        .size:           8
        .value_kind:     global_buffer
      - .offset:         24
        .size:           4
        .value_kind:     hidden_block_count_x
      - .offset:         28
        .size:           4
        .value_kind:     hidden_block_count_y
      - .offset:         32
        .size:           4
        .value_kind:     hidden_block_count_z
      - .offset:         36
        .size:           2
        .value_kind:     hidden_group_size_x
      - .offset:         38
        .size:           2
        .value_kind:     hidden_group_size_y
      - .offset:         40
        .size:           2
        .value_kind:     hidden_group_size_z
      - .offset:         42
        .size:           2
        .value_kind:     hidden_remainder_x
      - .offset:         44
        .size:           2
        .value_kind:     hidden_remainder_y
      - .offset:         46
        .size:           2
        .value_kind:     hidden_remainder_z
      - .offset:         64
        .size:           8
        .value_kind:     hidden_global_offset_x
      - .offset:         72
        .size:           8
        .value_kind:     hidden_global_offset_y
      - .offset:         80
        .size:           8
        .value_kind:     hidden_global_offset_z
      - .offset:         88
        .size:           2
        .value_kind:     hidden_grid_dims
    .group_segment_fixed_size: 0
    .kernarg_segment_align: 8
    .kernarg_segment_size: 280
    .language:       OpenCL C
    .language_version:
      - 2
      - 0
    .max_flat_workgroup_size: 64
    .name:           _Z33tail_segmented_warp_reduce_kernelIfhLj64ELj8EENSt9enable_ifIXsr10test_utilsE35device_test_enabled_for_warp_size_vIXT2_EEEvE4typeEPT_PT0_S4_
    .private_segment_fixed_size: 0
    .sgpr_count:     14
    .sgpr_spill_count: 0
    .symbol:         _Z33tail_segmented_warp_reduce_kernelIfhLj64ELj8EENSt9enable_ifIXsr10test_utilsE35device_test_enabled_for_warp_size_vIXT2_EEEvE4typeEPT_PT0_S4_.kd
    .uniform_work_group_size: 1
    .uses_dynamic_stack: false
    .vgpr_count:     12
    .vgpr_spill_count: 0
    .wavefront_size: 64
  - .agpr_count:     0
    .args:
      - .address_space:  global
        .offset:         0
        .size:           8
        .value_kind:     global_buffer
      - .address_space:  global
        .offset:         8
        .size:           8
        .value_kind:     global_buffer
      - .address_space:  global
        .offset:         16
        .size:           8
        .value_kind:     global_buffer
      - .offset:         24
        .size:           4
        .value_kind:     hidden_block_count_x
      - .offset:         28
        .size:           4
        .value_kind:     hidden_block_count_y
      - .offset:         32
        .size:           4
        .value_kind:     hidden_block_count_z
      - .offset:         36
        .size:           2
        .value_kind:     hidden_group_size_x
      - .offset:         38
        .size:           2
        .value_kind:     hidden_group_size_y
      - .offset:         40
        .size:           2
        .value_kind:     hidden_group_size_z
      - .offset:         42
        .size:           2
        .value_kind:     hidden_remainder_x
      - .offset:         44
        .size:           2
        .value_kind:     hidden_remainder_y
      - .offset:         46
        .size:           2
        .value_kind:     hidden_remainder_z
      - .offset:         64
        .size:           8
        .value_kind:     hidden_global_offset_x
      - .offset:         72
        .size:           8
        .value_kind:     hidden_global_offset_y
      - .offset:         80
        .size:           8
        .value_kind:     hidden_global_offset_z
      - .offset:         88
        .size:           2
        .value_kind:     hidden_grid_dims
    .group_segment_fixed_size: 0
    .kernarg_segment_align: 8
    .kernarg_segment_size: 280
    .language:       OpenCL C
    .language_version:
      - 2
      - 0
    .max_flat_workgroup_size: 32
    .name:           _Z33tail_segmented_warp_reduce_kernelIfhLj32ELj4EENSt9enable_ifIXsr10test_utilsE35device_test_enabled_for_warp_size_vIXT2_EEEvE4typeEPT_PT0_S4_
    .private_segment_fixed_size: 0
    .sgpr_count:     14
    .sgpr_spill_count: 0
    .symbol:         _Z33tail_segmented_warp_reduce_kernelIfhLj32ELj4EENSt9enable_ifIXsr10test_utilsE35device_test_enabled_for_warp_size_vIXT2_EEEvE4typeEPT_PT0_S4_.kd
    .uniform_work_group_size: 1
    .uses_dynamic_stack: false
    .vgpr_count:     11
    .vgpr_spill_count: 0
    .wavefront_size: 64
  - .agpr_count:     0
    .args:
      - .address_space:  global
        .offset:         0
        .size:           8
        .value_kind:     global_buffer
      - .address_space:  global
        .offset:         8
        .size:           8
        .value_kind:     global_buffer
      - .address_space:  global
        .offset:         16
        .size:           8
        .value_kind:     global_buffer
      - .offset:         24
        .size:           4
        .value_kind:     hidden_block_count_x
      - .offset:         28
        .size:           4
        .value_kind:     hidden_block_count_y
      - .offset:         32
        .size:           4
        .value_kind:     hidden_block_count_z
      - .offset:         36
        .size:           2
        .value_kind:     hidden_group_size_x
      - .offset:         38
        .size:           2
        .value_kind:     hidden_group_size_y
      - .offset:         40
        .size:           2
        .value_kind:     hidden_group_size_z
      - .offset:         42
        .size:           2
        .value_kind:     hidden_remainder_x
      - .offset:         44
        .size:           2
        .value_kind:     hidden_remainder_y
      - .offset:         46
        .size:           2
        .value_kind:     hidden_remainder_z
      - .offset:         64
        .size:           8
        .value_kind:     hidden_global_offset_x
      - .offset:         72
        .size:           8
        .value_kind:     hidden_global_offset_y
      - .offset:         80
        .size:           8
        .value_kind:     hidden_global_offset_z
      - .offset:         88
        .size:           2
        .value_kind:     hidden_grid_dims
    .group_segment_fixed_size: 0
    .kernarg_segment_align: 8
    .kernarg_segment_size: 280
    .language:       OpenCL C
    .language_version:
      - 2
      - 0
    .max_flat_workgroup_size: 64
    .name:           _Z33tail_segmented_warp_reduce_kernelIfhLj64ELj4EENSt9enable_ifIXsr10test_utilsE35device_test_enabled_for_warp_size_vIXT2_EEEvE4typeEPT_PT0_S4_
    .private_segment_fixed_size: 0
    .sgpr_count:     14
    .sgpr_spill_count: 0
    .symbol:         _Z33tail_segmented_warp_reduce_kernelIfhLj64ELj4EENSt9enable_ifIXsr10test_utilsE35device_test_enabled_for_warp_size_vIXT2_EEEvE4typeEPT_PT0_S4_.kd
    .uniform_work_group_size: 1
    .uses_dynamic_stack: false
    .vgpr_count:     11
    .vgpr_spill_count: 0
    .wavefront_size: 64
  - .agpr_count:     0
    .args:
      - .address_space:  global
        .offset:         0
        .size:           8
        .value_kind:     global_buffer
      - .address_space:  global
        .offset:         8
        .size:           8
        .value_kind:     global_buffer
      - .address_space:  global
        .offset:         16
        .size:           8
        .value_kind:     global_buffer
      - .offset:         24
        .size:           4
        .value_kind:     hidden_block_count_x
      - .offset:         28
        .size:           4
        .value_kind:     hidden_block_count_y
      - .offset:         32
        .size:           4
        .value_kind:     hidden_block_count_z
      - .offset:         36
        .size:           2
        .value_kind:     hidden_group_size_x
      - .offset:         38
        .size:           2
        .value_kind:     hidden_group_size_y
      - .offset:         40
        .size:           2
        .value_kind:     hidden_group_size_z
      - .offset:         42
        .size:           2
        .value_kind:     hidden_remainder_x
      - .offset:         44
        .size:           2
        .value_kind:     hidden_remainder_y
      - .offset:         46
        .size:           2
        .value_kind:     hidden_remainder_z
      - .offset:         64
        .size:           8
        .value_kind:     hidden_global_offset_x
      - .offset:         72
        .size:           8
        .value_kind:     hidden_global_offset_y
      - .offset:         80
        .size:           8
        .value_kind:     hidden_global_offset_z
      - .offset:         88
        .size:           2
        .value_kind:     hidden_grid_dims
    .group_segment_fixed_size: 0
    .kernarg_segment_align: 8
    .kernarg_segment_size: 280
    .language:       OpenCL C
    .language_version:
      - 2
      - 0
    .max_flat_workgroup_size: 32
    .name:           _Z33tail_segmented_warp_reduce_kernelIfhLj32ELj2EENSt9enable_ifIXsr10test_utilsE35device_test_enabled_for_warp_size_vIXT2_EEEvE4typeEPT_PT0_S4_
    .private_segment_fixed_size: 0
    .sgpr_count:     14
    .sgpr_spill_count: 0
    .symbol:         _Z33tail_segmented_warp_reduce_kernelIfhLj32ELj2EENSt9enable_ifIXsr10test_utilsE35device_test_enabled_for_warp_size_vIXT2_EEEvE4typeEPT_PT0_S4_.kd
    .uniform_work_group_size: 1
    .uses_dynamic_stack: false
    .vgpr_count:     10
    .vgpr_spill_count: 0
    .wavefront_size: 64
  - .agpr_count:     0
    .args:
      - .address_space:  global
        .offset:         0
        .size:           8
        .value_kind:     global_buffer
      - .address_space:  global
        .offset:         8
        .size:           8
        .value_kind:     global_buffer
      - .address_space:  global
        .offset:         16
        .size:           8
        .value_kind:     global_buffer
      - .offset:         24
        .size:           4
        .value_kind:     hidden_block_count_x
      - .offset:         28
        .size:           4
        .value_kind:     hidden_block_count_y
      - .offset:         32
        .size:           4
        .value_kind:     hidden_block_count_z
      - .offset:         36
        .size:           2
        .value_kind:     hidden_group_size_x
      - .offset:         38
        .size:           2
        .value_kind:     hidden_group_size_y
      - .offset:         40
        .size:           2
        .value_kind:     hidden_group_size_z
      - .offset:         42
        .size:           2
        .value_kind:     hidden_remainder_x
      - .offset:         44
        .size:           2
        .value_kind:     hidden_remainder_y
      - .offset:         46
        .size:           2
        .value_kind:     hidden_remainder_z
      - .offset:         64
        .size:           8
        .value_kind:     hidden_global_offset_x
      - .offset:         72
        .size:           8
        .value_kind:     hidden_global_offset_y
      - .offset:         80
        .size:           8
        .value_kind:     hidden_global_offset_z
      - .offset:         88
        .size:           2
        .value_kind:     hidden_grid_dims
    .group_segment_fixed_size: 0
    .kernarg_segment_align: 8
    .kernarg_segment_size: 280
    .language:       OpenCL C
    .language_version:
      - 2
      - 0
    .max_flat_workgroup_size: 64
    .name:           _Z33tail_segmented_warp_reduce_kernelIfhLj64ELj2EENSt9enable_ifIXsr10test_utilsE35device_test_enabled_for_warp_size_vIXT2_EEEvE4typeEPT_PT0_S4_
    .private_segment_fixed_size: 0
    .sgpr_count:     14
    .sgpr_spill_count: 0
    .symbol:         _Z33tail_segmented_warp_reduce_kernelIfhLj64ELj2EENSt9enable_ifIXsr10test_utilsE35device_test_enabled_for_warp_size_vIXT2_EEEvE4typeEPT_PT0_S4_.kd
    .uniform_work_group_size: 1
    .uses_dynamic_stack: false
    .vgpr_count:     10
    .vgpr_spill_count: 0
    .wavefront_size: 64
  - .agpr_count:     0
    .args:
      - .address_space:  global
        .offset:         0
        .size:           8
        .value_kind:     global_buffer
      - .address_space:  global
        .offset:         8
        .size:           8
        .value_kind:     global_buffer
      - .address_space:  global
        .offset:         16
        .size:           8
        .value_kind:     global_buffer
      - .offset:         24
        .size:           4
        .value_kind:     hidden_block_count_x
      - .offset:         28
        .size:           4
        .value_kind:     hidden_block_count_y
      - .offset:         32
        .size:           4
        .value_kind:     hidden_block_count_z
      - .offset:         36
        .size:           2
        .value_kind:     hidden_group_size_x
      - .offset:         38
        .size:           2
        .value_kind:     hidden_group_size_y
      - .offset:         40
        .size:           2
        .value_kind:     hidden_group_size_z
      - .offset:         42
        .size:           2
        .value_kind:     hidden_remainder_x
      - .offset:         44
        .size:           2
        .value_kind:     hidden_remainder_y
      - .offset:         46
        .size:           2
        .value_kind:     hidden_remainder_z
      - .offset:         64
        .size:           8
        .value_kind:     hidden_global_offset_x
      - .offset:         72
        .size:           8
        .value_kind:     hidden_global_offset_y
      - .offset:         80
        .size:           8
        .value_kind:     hidden_global_offset_z
      - .offset:         88
        .size:           2
        .value_kind:     hidden_grid_dims
    .group_segment_fixed_size: 0
    .kernarg_segment_align: 8
    .kernarg_segment_size: 280
    .language:       OpenCL C
    .language_version:
      - 2
      - 0
    .max_flat_workgroup_size: 32
    .name:           _Z33tail_segmented_warp_reduce_kernelIfhLj32ELj1EENSt9enable_ifIXsr10test_utilsE35device_test_enabled_for_warp_size_vIXT2_EEEvE4typeEPT_PT0_S4_
    .private_segment_fixed_size: 0
    .sgpr_count:     12
    .sgpr_spill_count: 0
    .symbol:         _Z33tail_segmented_warp_reduce_kernelIfhLj32ELj1EENSt9enable_ifIXsr10test_utilsE35device_test_enabled_for_warp_size_vIXT2_EEEvE4typeEPT_PT0_S4_.kd
    .uniform_work_group_size: 1
    .uses_dynamic_stack: false
    .vgpr_count:     4
    .vgpr_spill_count: 0
    .wavefront_size: 64
  - .agpr_count:     0
    .args:
      - .address_space:  global
        .offset:         0
        .size:           8
        .value_kind:     global_buffer
      - .address_space:  global
        .offset:         8
        .size:           8
        .value_kind:     global_buffer
      - .address_space:  global
        .offset:         16
        .size:           8
        .value_kind:     global_buffer
      - .offset:         24
        .size:           4
        .value_kind:     hidden_block_count_x
      - .offset:         28
        .size:           4
        .value_kind:     hidden_block_count_y
      - .offset:         32
        .size:           4
        .value_kind:     hidden_block_count_z
      - .offset:         36
        .size:           2
        .value_kind:     hidden_group_size_x
      - .offset:         38
        .size:           2
        .value_kind:     hidden_group_size_y
      - .offset:         40
        .size:           2
        .value_kind:     hidden_group_size_z
      - .offset:         42
        .size:           2
        .value_kind:     hidden_remainder_x
      - .offset:         44
        .size:           2
        .value_kind:     hidden_remainder_y
      - .offset:         46
        .size:           2
        .value_kind:     hidden_remainder_z
      - .offset:         64
        .size:           8
        .value_kind:     hidden_global_offset_x
      - .offset:         72
        .size:           8
        .value_kind:     hidden_global_offset_y
      - .offset:         80
        .size:           8
        .value_kind:     hidden_global_offset_z
      - .offset:         88
        .size:           2
        .value_kind:     hidden_grid_dims
    .group_segment_fixed_size: 0
    .kernarg_segment_align: 8
    .kernarg_segment_size: 280
    .language:       OpenCL C
    .language_version:
      - 2
      - 0
    .max_flat_workgroup_size: 64
    .name:           _Z33tail_segmented_warp_reduce_kernelIfhLj64ELj1EENSt9enable_ifIXsr10test_utilsE35device_test_enabled_for_warp_size_vIXT2_EEEvE4typeEPT_PT0_S4_
    .private_segment_fixed_size: 0
    .sgpr_count:     12
    .sgpr_spill_count: 0
    .symbol:         _Z33tail_segmented_warp_reduce_kernelIfhLj64ELj1EENSt9enable_ifIXsr10test_utilsE35device_test_enabled_for_warp_size_vIXT2_EEEvE4typeEPT_PT0_S4_.kd
    .uniform_work_group_size: 1
    .uses_dynamic_stack: false
    .vgpr_count:     4
    .vgpr_spill_count: 0
    .wavefront_size: 64
  - .agpr_count:     0
    .args:
      - .address_space:  global
        .offset:         0
        .size:           8
        .value_kind:     global_buffer
      - .address_space:  global
        .offset:         8
        .size:           8
        .value_kind:     global_buffer
      - .address_space:  global
        .offset:         16
        .size:           8
        .value_kind:     global_buffer
      - .offset:         24
        .size:           4
        .value_kind:     hidden_block_count_x
      - .offset:         28
        .size:           4
        .value_kind:     hidden_block_count_y
      - .offset:         32
        .size:           4
        .value_kind:     hidden_block_count_z
      - .offset:         36
        .size:           2
        .value_kind:     hidden_group_size_x
      - .offset:         38
        .size:           2
        .value_kind:     hidden_group_size_y
      - .offset:         40
        .size:           2
        .value_kind:     hidden_group_size_z
      - .offset:         42
        .size:           2
        .value_kind:     hidden_remainder_x
      - .offset:         44
        .size:           2
        .value_kind:     hidden_remainder_y
      - .offset:         46
        .size:           2
        .value_kind:     hidden_remainder_z
      - .offset:         64
        .size:           8
        .value_kind:     hidden_global_offset_x
      - .offset:         72
        .size:           8
        .value_kind:     hidden_global_offset_y
      - .offset:         80
        .size:           8
        .value_kind:     hidden_global_offset_z
      - .offset:         88
        .size:           2
        .value_kind:     hidden_grid_dims
    .group_segment_fixed_size: 0
    .kernarg_segment_align: 8
    .kernarg_segment_size: 280
    .language:       OpenCL C
    .language_version:
      - 2
      - 0
    .max_flat_workgroup_size: 256
    .name:           _Z33tail_segmented_warp_reduce_kernelIihLj256ELj64EENSt9enable_ifIXsr10test_utilsE35device_test_enabled_for_warp_size_vIXT2_EEEvE4typeEPT_PT0_S4_
    .private_segment_fixed_size: 0
    .sgpr_count:     16
    .sgpr_spill_count: 0
    .symbol:         _Z33tail_segmented_warp_reduce_kernelIihLj256ELj64EENSt9enable_ifIXsr10test_utilsE35device_test_enabled_for_warp_size_vIXT2_EEEvE4typeEPT_PT0_S4_.kd
    .uniform_work_group_size: 1
    .uses_dynamic_stack: false
    .vgpr_count:     15
    .vgpr_spill_count: 0
    .wavefront_size: 64
  - .agpr_count:     0
    .args:
      - .address_space:  global
        .offset:         0
        .size:           8
        .value_kind:     global_buffer
      - .address_space:  global
        .offset:         8
        .size:           8
        .value_kind:     global_buffer
      - .address_space:  global
        .offset:         16
        .size:           8
        .value_kind:     global_buffer
      - .offset:         24
        .size:           4
        .value_kind:     hidden_block_count_x
      - .offset:         28
        .size:           4
        .value_kind:     hidden_block_count_y
      - .offset:         32
        .size:           4
        .value_kind:     hidden_block_count_z
      - .offset:         36
        .size:           2
        .value_kind:     hidden_group_size_x
      - .offset:         38
        .size:           2
        .value_kind:     hidden_group_size_y
      - .offset:         40
        .size:           2
        .value_kind:     hidden_group_size_z
      - .offset:         42
        .size:           2
        .value_kind:     hidden_remainder_x
      - .offset:         44
        .size:           2
        .value_kind:     hidden_remainder_y
      - .offset:         46
        .size:           2
        .value_kind:     hidden_remainder_z
      - .offset:         64
        .size:           8
        .value_kind:     hidden_global_offset_x
      - .offset:         72
        .size:           8
        .value_kind:     hidden_global_offset_y
      - .offset:         80
        .size:           8
        .value_kind:     hidden_global_offset_z
      - .offset:         88
        .size:           2
        .value_kind:     hidden_grid_dims
    .group_segment_fixed_size: 0
    .kernarg_segment_align: 8
    .kernarg_segment_size: 280
    .language:       OpenCL C
    .language_version:
      - 2
      - 0
    .max_flat_workgroup_size: 128
    .name:           _Z33tail_segmented_warp_reduce_kernelIihLj128ELj32EENSt9enable_ifIXsr10test_utilsE35device_test_enabled_for_warp_size_vIXT2_EEEvE4typeEPT_PT0_S4_
    .private_segment_fixed_size: 0
    .sgpr_count:     16
    .sgpr_spill_count: 0
    .symbol:         _Z33tail_segmented_warp_reduce_kernelIihLj128ELj32EENSt9enable_ifIXsr10test_utilsE35device_test_enabled_for_warp_size_vIXT2_EEEvE4typeEPT_PT0_S4_.kd
    .uniform_work_group_size: 1
    .uses_dynamic_stack: false
    .vgpr_count:     14
    .vgpr_spill_count: 0
    .wavefront_size: 64
  - .agpr_count:     0
    .args:
      - .address_space:  global
        .offset:         0
        .size:           8
        .value_kind:     global_buffer
      - .address_space:  global
        .offset:         8
        .size:           8
        .value_kind:     global_buffer
      - .address_space:  global
        .offset:         16
        .size:           8
        .value_kind:     global_buffer
      - .offset:         24
        .size:           4
        .value_kind:     hidden_block_count_x
      - .offset:         28
        .size:           4
        .value_kind:     hidden_block_count_y
      - .offset:         32
        .size:           4
        .value_kind:     hidden_block_count_z
      - .offset:         36
        .size:           2
        .value_kind:     hidden_group_size_x
      - .offset:         38
        .size:           2
        .value_kind:     hidden_group_size_y
      - .offset:         40
        .size:           2
        .value_kind:     hidden_group_size_z
      - .offset:         42
        .size:           2
        .value_kind:     hidden_remainder_x
      - .offset:         44
        .size:           2
        .value_kind:     hidden_remainder_y
      - .offset:         46
        .size:           2
        .value_kind:     hidden_remainder_z
      - .offset:         64
        .size:           8
        .value_kind:     hidden_global_offset_x
      - .offset:         72
        .size:           8
        .value_kind:     hidden_global_offset_y
      - .offset:         80
        .size:           8
        .value_kind:     hidden_global_offset_z
      - .offset:         88
        .size:           2
        .value_kind:     hidden_grid_dims
    .group_segment_fixed_size: 0
    .kernarg_segment_align: 8
    .kernarg_segment_size: 280
    .language:       OpenCL C
    .language_version:
      - 2
      - 0
    .max_flat_workgroup_size: 64
    .name:           _Z33tail_segmented_warp_reduce_kernelIihLj64ELj16EENSt9enable_ifIXsr10test_utilsE35device_test_enabled_for_warp_size_vIXT2_EEEvE4typeEPT_PT0_S4_
    .private_segment_fixed_size: 0
    .sgpr_count:     16
    .sgpr_spill_count: 0
    .symbol:         _Z33tail_segmented_warp_reduce_kernelIihLj64ELj16EENSt9enable_ifIXsr10test_utilsE35device_test_enabled_for_warp_size_vIXT2_EEEvE4typeEPT_PT0_S4_.kd
    .uniform_work_group_size: 1
    .uses_dynamic_stack: false
    .vgpr_count:     13
    .vgpr_spill_count: 0
    .wavefront_size: 64
  - .agpr_count:     0
    .args:
      - .address_space:  global
        .offset:         0
        .size:           8
        .value_kind:     global_buffer
      - .address_space:  global
        .offset:         8
        .size:           8
        .value_kind:     global_buffer
      - .address_space:  global
        .offset:         16
        .size:           8
        .value_kind:     global_buffer
      - .offset:         24
        .size:           4
        .value_kind:     hidden_block_count_x
      - .offset:         28
        .size:           4
        .value_kind:     hidden_block_count_y
      - .offset:         32
        .size:           4
        .value_kind:     hidden_block_count_z
      - .offset:         36
        .size:           2
        .value_kind:     hidden_group_size_x
      - .offset:         38
        .size:           2
        .value_kind:     hidden_group_size_y
      - .offset:         40
        .size:           2
        .value_kind:     hidden_group_size_z
      - .offset:         42
        .size:           2
        .value_kind:     hidden_remainder_x
      - .offset:         44
        .size:           2
        .value_kind:     hidden_remainder_y
      - .offset:         46
        .size:           2
        .value_kind:     hidden_remainder_z
      - .offset:         64
        .size:           8
        .value_kind:     hidden_global_offset_x
      - .offset:         72
        .size:           8
        .value_kind:     hidden_global_offset_y
      - .offset:         80
        .size:           8
        .value_kind:     hidden_global_offset_z
      - .offset:         88
        .size:           2
        .value_kind:     hidden_grid_dims
    .group_segment_fixed_size: 0
    .kernarg_segment_align: 8
    .kernarg_segment_size: 280
    .language:       OpenCL C
    .language_version:
      - 2
      - 0
    .max_flat_workgroup_size: 32
    .name:           _Z33tail_segmented_warp_reduce_kernelIihLj32ELj8EENSt9enable_ifIXsr10test_utilsE35device_test_enabled_for_warp_size_vIXT2_EEEvE4typeEPT_PT0_S4_
    .private_segment_fixed_size: 0
    .sgpr_count:     14
    .sgpr_spill_count: 0
    .symbol:         _Z33tail_segmented_warp_reduce_kernelIihLj32ELj8EENSt9enable_ifIXsr10test_utilsE35device_test_enabled_for_warp_size_vIXT2_EEEvE4typeEPT_PT0_S4_.kd
    .uniform_work_group_size: 1
    .uses_dynamic_stack: false
    .vgpr_count:     12
    .vgpr_spill_count: 0
    .wavefront_size: 64
  - .agpr_count:     0
    .args:
      - .address_space:  global
        .offset:         0
        .size:           8
        .value_kind:     global_buffer
      - .address_space:  global
        .offset:         8
        .size:           8
        .value_kind:     global_buffer
      - .address_space:  global
        .offset:         16
        .size:           8
        .value_kind:     global_buffer
      - .offset:         24
        .size:           4
        .value_kind:     hidden_block_count_x
      - .offset:         28
        .size:           4
        .value_kind:     hidden_block_count_y
      - .offset:         32
        .size:           4
        .value_kind:     hidden_block_count_z
      - .offset:         36
        .size:           2
        .value_kind:     hidden_group_size_x
      - .offset:         38
        .size:           2
        .value_kind:     hidden_group_size_y
      - .offset:         40
        .size:           2
        .value_kind:     hidden_group_size_z
      - .offset:         42
        .size:           2
        .value_kind:     hidden_remainder_x
      - .offset:         44
        .size:           2
        .value_kind:     hidden_remainder_y
      - .offset:         46
        .size:           2
        .value_kind:     hidden_remainder_z
      - .offset:         64
        .size:           8
        .value_kind:     hidden_global_offset_x
      - .offset:         72
        .size:           8
        .value_kind:     hidden_global_offset_y
      - .offset:         80
        .size:           8
        .value_kind:     hidden_global_offset_z
      - .offset:         88
        .size:           2
        .value_kind:     hidden_grid_dims
    .group_segment_fixed_size: 0
    .kernarg_segment_align: 8
    .kernarg_segment_size: 280
    .language:       OpenCL C
    .language_version:
      - 2
      - 0
    .max_flat_workgroup_size: 64
    .name:           _Z33tail_segmented_warp_reduce_kernelIihLj64ELj8EENSt9enable_ifIXsr10test_utilsE35device_test_enabled_for_warp_size_vIXT2_EEEvE4typeEPT_PT0_S4_
    .private_segment_fixed_size: 0
    .sgpr_count:     14
    .sgpr_spill_count: 0
    .symbol:         _Z33tail_segmented_warp_reduce_kernelIihLj64ELj8EENSt9enable_ifIXsr10test_utilsE35device_test_enabled_for_warp_size_vIXT2_EEEvE4typeEPT_PT0_S4_.kd
    .uniform_work_group_size: 1
    .uses_dynamic_stack: false
    .vgpr_count:     12
    .vgpr_spill_count: 0
    .wavefront_size: 64
  - .agpr_count:     0
    .args:
      - .address_space:  global
        .offset:         0
        .size:           8
        .value_kind:     global_buffer
      - .address_space:  global
        .offset:         8
        .size:           8
        .value_kind:     global_buffer
      - .address_space:  global
        .offset:         16
        .size:           8
        .value_kind:     global_buffer
      - .offset:         24
        .size:           4
        .value_kind:     hidden_block_count_x
      - .offset:         28
        .size:           4
        .value_kind:     hidden_block_count_y
      - .offset:         32
        .size:           4
        .value_kind:     hidden_block_count_z
      - .offset:         36
        .size:           2
        .value_kind:     hidden_group_size_x
      - .offset:         38
        .size:           2
        .value_kind:     hidden_group_size_y
      - .offset:         40
        .size:           2
        .value_kind:     hidden_group_size_z
      - .offset:         42
        .size:           2
        .value_kind:     hidden_remainder_x
      - .offset:         44
        .size:           2
        .value_kind:     hidden_remainder_y
      - .offset:         46
        .size:           2
        .value_kind:     hidden_remainder_z
      - .offset:         64
        .size:           8
        .value_kind:     hidden_global_offset_x
      - .offset:         72
        .size:           8
        .value_kind:     hidden_global_offset_y
      - .offset:         80
        .size:           8
        .value_kind:     hidden_global_offset_z
      - .offset:         88
        .size:           2
        .value_kind:     hidden_grid_dims
    .group_segment_fixed_size: 0
    .kernarg_segment_align: 8
    .kernarg_segment_size: 280
    .language:       OpenCL C
    .language_version:
      - 2
      - 0
    .max_flat_workgroup_size: 32
    .name:           _Z33tail_segmented_warp_reduce_kernelIihLj32ELj4EENSt9enable_ifIXsr10test_utilsE35device_test_enabled_for_warp_size_vIXT2_EEEvE4typeEPT_PT0_S4_
    .private_segment_fixed_size: 0
    .sgpr_count:     14
    .sgpr_spill_count: 0
    .symbol:         _Z33tail_segmented_warp_reduce_kernelIihLj32ELj4EENSt9enable_ifIXsr10test_utilsE35device_test_enabled_for_warp_size_vIXT2_EEEvE4typeEPT_PT0_S4_.kd
    .uniform_work_group_size: 1
    .uses_dynamic_stack: false
    .vgpr_count:     11
    .vgpr_spill_count: 0
    .wavefront_size: 64
  - .agpr_count:     0
    .args:
      - .address_space:  global
        .offset:         0
        .size:           8
        .value_kind:     global_buffer
      - .address_space:  global
        .offset:         8
        .size:           8
        .value_kind:     global_buffer
      - .address_space:  global
        .offset:         16
        .size:           8
        .value_kind:     global_buffer
      - .offset:         24
        .size:           4
        .value_kind:     hidden_block_count_x
      - .offset:         28
        .size:           4
        .value_kind:     hidden_block_count_y
      - .offset:         32
        .size:           4
        .value_kind:     hidden_block_count_z
      - .offset:         36
        .size:           2
        .value_kind:     hidden_group_size_x
      - .offset:         38
        .size:           2
        .value_kind:     hidden_group_size_y
      - .offset:         40
        .size:           2
        .value_kind:     hidden_group_size_z
      - .offset:         42
        .size:           2
        .value_kind:     hidden_remainder_x
      - .offset:         44
        .size:           2
        .value_kind:     hidden_remainder_y
      - .offset:         46
        .size:           2
        .value_kind:     hidden_remainder_z
      - .offset:         64
        .size:           8
        .value_kind:     hidden_global_offset_x
      - .offset:         72
        .size:           8
        .value_kind:     hidden_global_offset_y
      - .offset:         80
        .size:           8
        .value_kind:     hidden_global_offset_z
      - .offset:         88
        .size:           2
        .value_kind:     hidden_grid_dims
    .group_segment_fixed_size: 0
    .kernarg_segment_align: 8
    .kernarg_segment_size: 280
    .language:       OpenCL C
    .language_version:
      - 2
      - 0
    .max_flat_workgroup_size: 64
    .name:           _Z33tail_segmented_warp_reduce_kernelIihLj64ELj4EENSt9enable_ifIXsr10test_utilsE35device_test_enabled_for_warp_size_vIXT2_EEEvE4typeEPT_PT0_S4_
    .private_segment_fixed_size: 0
    .sgpr_count:     14
    .sgpr_spill_count: 0
    .symbol:         _Z33tail_segmented_warp_reduce_kernelIihLj64ELj4EENSt9enable_ifIXsr10test_utilsE35device_test_enabled_for_warp_size_vIXT2_EEEvE4typeEPT_PT0_S4_.kd
    .uniform_work_group_size: 1
    .uses_dynamic_stack: false
    .vgpr_count:     11
    .vgpr_spill_count: 0
    .wavefront_size: 64
  - .agpr_count:     0
    .args:
      - .address_space:  global
        .offset:         0
        .size:           8
        .value_kind:     global_buffer
      - .address_space:  global
        .offset:         8
        .size:           8
        .value_kind:     global_buffer
      - .address_space:  global
        .offset:         16
        .size:           8
        .value_kind:     global_buffer
      - .offset:         24
        .size:           4
        .value_kind:     hidden_block_count_x
      - .offset:         28
        .size:           4
        .value_kind:     hidden_block_count_y
      - .offset:         32
        .size:           4
        .value_kind:     hidden_block_count_z
      - .offset:         36
        .size:           2
        .value_kind:     hidden_group_size_x
      - .offset:         38
        .size:           2
        .value_kind:     hidden_group_size_y
      - .offset:         40
        .size:           2
        .value_kind:     hidden_group_size_z
      - .offset:         42
        .size:           2
        .value_kind:     hidden_remainder_x
      - .offset:         44
        .size:           2
        .value_kind:     hidden_remainder_y
      - .offset:         46
        .size:           2
        .value_kind:     hidden_remainder_z
      - .offset:         64
        .size:           8
        .value_kind:     hidden_global_offset_x
      - .offset:         72
        .size:           8
        .value_kind:     hidden_global_offset_y
      - .offset:         80
        .size:           8
        .value_kind:     hidden_global_offset_z
      - .offset:         88
        .size:           2
        .value_kind:     hidden_grid_dims
    .group_segment_fixed_size: 0
    .kernarg_segment_align: 8
    .kernarg_segment_size: 280
    .language:       OpenCL C
    .language_version:
      - 2
      - 0
    .max_flat_workgroup_size: 32
    .name:           _Z33tail_segmented_warp_reduce_kernelIihLj32ELj2EENSt9enable_ifIXsr10test_utilsE35device_test_enabled_for_warp_size_vIXT2_EEEvE4typeEPT_PT0_S4_
    .private_segment_fixed_size: 0
    .sgpr_count:     14
    .sgpr_spill_count: 0
    .symbol:         _Z33tail_segmented_warp_reduce_kernelIihLj32ELj2EENSt9enable_ifIXsr10test_utilsE35device_test_enabled_for_warp_size_vIXT2_EEEvE4typeEPT_PT0_S4_.kd
    .uniform_work_group_size: 1
    .uses_dynamic_stack: false
    .vgpr_count:     10
    .vgpr_spill_count: 0
    .wavefront_size: 64
  - .agpr_count:     0
    .args:
      - .address_space:  global
        .offset:         0
        .size:           8
        .value_kind:     global_buffer
      - .address_space:  global
        .offset:         8
        .size:           8
        .value_kind:     global_buffer
      - .address_space:  global
        .offset:         16
        .size:           8
        .value_kind:     global_buffer
      - .offset:         24
        .size:           4
        .value_kind:     hidden_block_count_x
      - .offset:         28
        .size:           4
        .value_kind:     hidden_block_count_y
      - .offset:         32
        .size:           4
        .value_kind:     hidden_block_count_z
      - .offset:         36
        .size:           2
        .value_kind:     hidden_group_size_x
      - .offset:         38
        .size:           2
        .value_kind:     hidden_group_size_y
      - .offset:         40
        .size:           2
        .value_kind:     hidden_group_size_z
      - .offset:         42
        .size:           2
        .value_kind:     hidden_remainder_x
      - .offset:         44
        .size:           2
        .value_kind:     hidden_remainder_y
      - .offset:         46
        .size:           2
        .value_kind:     hidden_remainder_z
      - .offset:         64
        .size:           8
        .value_kind:     hidden_global_offset_x
      - .offset:         72
        .size:           8
        .value_kind:     hidden_global_offset_y
      - .offset:         80
        .size:           8
        .value_kind:     hidden_global_offset_z
      - .offset:         88
        .size:           2
        .value_kind:     hidden_grid_dims
    .group_segment_fixed_size: 0
    .kernarg_segment_align: 8
    .kernarg_segment_size: 280
    .language:       OpenCL C
    .language_version:
      - 2
      - 0
    .max_flat_workgroup_size: 64
    .name:           _Z33tail_segmented_warp_reduce_kernelIihLj64ELj2EENSt9enable_ifIXsr10test_utilsE35device_test_enabled_for_warp_size_vIXT2_EEEvE4typeEPT_PT0_S4_
    .private_segment_fixed_size: 0
    .sgpr_count:     14
    .sgpr_spill_count: 0
    .symbol:         _Z33tail_segmented_warp_reduce_kernelIihLj64ELj2EENSt9enable_ifIXsr10test_utilsE35device_test_enabled_for_warp_size_vIXT2_EEEvE4typeEPT_PT0_S4_.kd
    .uniform_work_group_size: 1
    .uses_dynamic_stack: false
    .vgpr_count:     10
    .vgpr_spill_count: 0
    .wavefront_size: 64
  - .agpr_count:     0
    .args:
      - .address_space:  global
        .offset:         0
        .size:           8
        .value_kind:     global_buffer
      - .address_space:  global
        .offset:         8
        .size:           8
        .value_kind:     global_buffer
      - .address_space:  global
        .offset:         16
        .size:           8
        .value_kind:     global_buffer
      - .offset:         24
        .size:           4
        .value_kind:     hidden_block_count_x
      - .offset:         28
        .size:           4
        .value_kind:     hidden_block_count_y
      - .offset:         32
        .size:           4
        .value_kind:     hidden_block_count_z
      - .offset:         36
        .size:           2
        .value_kind:     hidden_group_size_x
      - .offset:         38
        .size:           2
        .value_kind:     hidden_group_size_y
      - .offset:         40
        .size:           2
        .value_kind:     hidden_group_size_z
      - .offset:         42
        .size:           2
        .value_kind:     hidden_remainder_x
      - .offset:         44
        .size:           2
        .value_kind:     hidden_remainder_y
      - .offset:         46
        .size:           2
        .value_kind:     hidden_remainder_z
      - .offset:         64
        .size:           8
        .value_kind:     hidden_global_offset_x
      - .offset:         72
        .size:           8
        .value_kind:     hidden_global_offset_y
      - .offset:         80
        .size:           8
        .value_kind:     hidden_global_offset_z
      - .offset:         88
        .size:           2
        .value_kind:     hidden_grid_dims
    .group_segment_fixed_size: 0
    .kernarg_segment_align: 8
    .kernarg_segment_size: 280
    .language:       OpenCL C
    .language_version:
      - 2
      - 0
    .max_flat_workgroup_size: 32
    .name:           _Z33tail_segmented_warp_reduce_kernelIihLj32ELj1EENSt9enable_ifIXsr10test_utilsE35device_test_enabled_for_warp_size_vIXT2_EEEvE4typeEPT_PT0_S4_
    .private_segment_fixed_size: 0
    .sgpr_count:     12
    .sgpr_spill_count: 0
    .symbol:         _Z33tail_segmented_warp_reduce_kernelIihLj32ELj1EENSt9enable_ifIXsr10test_utilsE35device_test_enabled_for_warp_size_vIXT2_EEEvE4typeEPT_PT0_S4_.kd
    .uniform_work_group_size: 1
    .uses_dynamic_stack: false
    .vgpr_count:     4
    .vgpr_spill_count: 0
    .wavefront_size: 64
  - .agpr_count:     0
    .args:
      - .address_space:  global
        .offset:         0
        .size:           8
        .value_kind:     global_buffer
      - .address_space:  global
        .offset:         8
        .size:           8
        .value_kind:     global_buffer
      - .address_space:  global
        .offset:         16
        .size:           8
        .value_kind:     global_buffer
      - .offset:         24
        .size:           4
        .value_kind:     hidden_block_count_x
      - .offset:         28
        .size:           4
        .value_kind:     hidden_block_count_y
      - .offset:         32
        .size:           4
        .value_kind:     hidden_block_count_z
      - .offset:         36
        .size:           2
        .value_kind:     hidden_group_size_x
      - .offset:         38
        .size:           2
        .value_kind:     hidden_group_size_y
      - .offset:         40
        .size:           2
        .value_kind:     hidden_group_size_z
      - .offset:         42
        .size:           2
        .value_kind:     hidden_remainder_x
      - .offset:         44
        .size:           2
        .value_kind:     hidden_remainder_y
      - .offset:         46
        .size:           2
        .value_kind:     hidden_remainder_z
      - .offset:         64
        .size:           8
        .value_kind:     hidden_global_offset_x
      - .offset:         72
        .size:           8
        .value_kind:     hidden_global_offset_y
      - .offset:         80
        .size:           8
        .value_kind:     hidden_global_offset_z
      - .offset:         88
        .size:           2
        .value_kind:     hidden_grid_dims
    .group_segment_fixed_size: 0
    .kernarg_segment_align: 8
    .kernarg_segment_size: 280
    .language:       OpenCL C
    .language_version:
      - 2
      - 0
    .max_flat_workgroup_size: 64
    .name:           _Z33tail_segmented_warp_reduce_kernelIihLj64ELj1EENSt9enable_ifIXsr10test_utilsE35device_test_enabled_for_warp_size_vIXT2_EEEvE4typeEPT_PT0_S4_
    .private_segment_fixed_size: 0
    .sgpr_count:     12
    .sgpr_spill_count: 0
    .symbol:         _Z33tail_segmented_warp_reduce_kernelIihLj64ELj1EENSt9enable_ifIXsr10test_utilsE35device_test_enabled_for_warp_size_vIXT2_EEEvE4typeEPT_PT0_S4_.kd
    .uniform_work_group_size: 1
    .uses_dynamic_stack: false
    .vgpr_count:     4
    .vgpr_spill_count: 0
    .wavefront_size: 64
amdhsa.target:   amdgcn-amd-amdhsa--gfx90a
amdhsa.version:
  - 1
  - 2
...

	.end_amdgpu_metadata
